;; amdgpu-corpus repo=ROCm/rocFFT kind=compiled arch=gfx1030 opt=O3
	.text
	.amdgcn_target "amdgcn-amd-amdhsa--gfx1030"
	.amdhsa_code_object_version 6
	.protected	fft_rtc_back_len1836_factors_17_3_3_2_6_wgs_153_tpt_153_halfLds_dp_op_CI_CI_unitstride_sbrr_R2C_dirReg ; -- Begin function fft_rtc_back_len1836_factors_17_3_3_2_6_wgs_153_tpt_153_halfLds_dp_op_CI_CI_unitstride_sbrr_R2C_dirReg
	.globl	fft_rtc_back_len1836_factors_17_3_3_2_6_wgs_153_tpt_153_halfLds_dp_op_CI_CI_unitstride_sbrr_R2C_dirReg
	.p2align	8
	.type	fft_rtc_back_len1836_factors_17_3_3_2_6_wgs_153_tpt_153_halfLds_dp_op_CI_CI_unitstride_sbrr_R2C_dirReg,@function
fft_rtc_back_len1836_factors_17_3_3_2_6_wgs_153_tpt_153_halfLds_dp_op_CI_CI_unitstride_sbrr_R2C_dirReg: ; @fft_rtc_back_len1836_factors_17_3_3_2_6_wgs_153_tpt_153_halfLds_dp_op_CI_CI_unitstride_sbrr_R2C_dirReg
; %bb.0:
	s_clause 0x2
	s_load_dwordx4 s[12:15], s[4:5], 0x0
	s_load_dwordx4 s[8:11], s[4:5], 0x58
	;; [unrolled: 1-line block ×3, first 2 shown]
	v_mul_u32_u24_e32 v1, 0x1ad, v0
	v_mov_b32_e32 v3, 0
	v_add_nc_u32_sdwa v5, s6, v1 dst_sel:DWORD dst_unused:UNUSED_PAD src0_sel:DWORD src1_sel:WORD_1
	v_mov_b32_e32 v1, 0
	v_mov_b32_e32 v6, v3
	v_mov_b32_e32 v2, 0
	s_waitcnt lgkmcnt(0)
	v_cmp_lt_u64_e64 s0, s[14:15], 2
	s_and_b32 vcc_lo, exec_lo, s0
	s_cbranch_vccnz .LBB0_8
; %bb.1:
	s_load_dwordx2 s[0:1], s[4:5], 0x10
	v_mov_b32_e32 v1, 0
	v_mov_b32_e32 v2, 0
	s_add_u32 s2, s18, 8
	s_addc_u32 s3, s19, 0
	s_add_u32 s6, s16, 8
	s_addc_u32 s7, s17, 0
	v_mov_b32_e32 v69, v2
	v_mov_b32_e32 v68, v1
	s_mov_b64 s[22:23], 1
	s_waitcnt lgkmcnt(0)
	s_add_u32 s20, s0, 8
	s_addc_u32 s21, s1, 0
.LBB0_2:                                ; =>This Inner Loop Header: Depth=1
	s_load_dwordx2 s[24:25], s[20:21], 0x0
                                        ; implicit-def: $vgpr72_vgpr73
	s_mov_b32 s0, exec_lo
	s_waitcnt lgkmcnt(0)
	v_or_b32_e32 v4, s25, v6
	v_cmpx_ne_u64_e32 0, v[3:4]
	s_xor_b32 s1, exec_lo, s0
	s_cbranch_execz .LBB0_4
; %bb.3:                                ;   in Loop: Header=BB0_2 Depth=1
	v_cvt_f32_u32_e32 v4, s24
	v_cvt_f32_u32_e32 v7, s25
	s_sub_u32 s0, 0, s24
	s_subb_u32 s26, 0, s25
	v_fmac_f32_e32 v4, 0x4f800000, v7
	v_rcp_f32_e32 v4, v4
	v_mul_f32_e32 v4, 0x5f7ffffc, v4
	v_mul_f32_e32 v7, 0x2f800000, v4
	v_trunc_f32_e32 v7, v7
	v_fmac_f32_e32 v4, 0xcf800000, v7
	v_cvt_u32_f32_e32 v7, v7
	v_cvt_u32_f32_e32 v4, v4
	v_mul_lo_u32 v8, s0, v7
	v_mul_hi_u32 v9, s0, v4
	v_mul_lo_u32 v10, s26, v4
	v_add_nc_u32_e32 v8, v9, v8
	v_mul_lo_u32 v9, s0, v4
	v_add_nc_u32_e32 v8, v8, v10
	v_mul_hi_u32 v10, v4, v9
	v_mul_lo_u32 v11, v4, v8
	v_mul_hi_u32 v12, v4, v8
	v_mul_hi_u32 v13, v7, v9
	v_mul_lo_u32 v9, v7, v9
	v_mul_hi_u32 v14, v7, v8
	v_mul_lo_u32 v8, v7, v8
	v_add_co_u32 v10, vcc_lo, v10, v11
	v_add_co_ci_u32_e32 v11, vcc_lo, 0, v12, vcc_lo
	v_add_co_u32 v9, vcc_lo, v10, v9
	v_add_co_ci_u32_e32 v9, vcc_lo, v11, v13, vcc_lo
	v_add_co_ci_u32_e32 v10, vcc_lo, 0, v14, vcc_lo
	v_add_co_u32 v8, vcc_lo, v9, v8
	v_add_co_ci_u32_e32 v9, vcc_lo, 0, v10, vcc_lo
	v_add_co_u32 v4, vcc_lo, v4, v8
	v_add_co_ci_u32_e32 v7, vcc_lo, v7, v9, vcc_lo
	v_mul_hi_u32 v8, s0, v4
	v_mul_lo_u32 v10, s26, v4
	v_mul_lo_u32 v9, s0, v7
	v_add_nc_u32_e32 v8, v8, v9
	v_mul_lo_u32 v9, s0, v4
	v_add_nc_u32_e32 v8, v8, v10
	v_mul_hi_u32 v10, v4, v9
	v_mul_lo_u32 v11, v4, v8
	v_mul_hi_u32 v12, v4, v8
	v_mul_hi_u32 v13, v7, v9
	v_mul_lo_u32 v9, v7, v9
	v_mul_hi_u32 v14, v7, v8
	v_mul_lo_u32 v8, v7, v8
	v_add_co_u32 v10, vcc_lo, v10, v11
	v_add_co_ci_u32_e32 v11, vcc_lo, 0, v12, vcc_lo
	v_add_co_u32 v9, vcc_lo, v10, v9
	v_add_co_ci_u32_e32 v9, vcc_lo, v11, v13, vcc_lo
	v_add_co_ci_u32_e32 v10, vcc_lo, 0, v14, vcc_lo
	v_add_co_u32 v8, vcc_lo, v9, v8
	v_add_co_ci_u32_e32 v9, vcc_lo, 0, v10, vcc_lo
	v_add_co_u32 v4, vcc_lo, v4, v8
	v_add_co_ci_u32_e32 v11, vcc_lo, v7, v9, vcc_lo
	v_mul_hi_u32 v13, v5, v4
	v_mad_u64_u32 v[9:10], null, v6, v4, 0
	v_mad_u64_u32 v[7:8], null, v5, v11, 0
	;; [unrolled: 1-line block ×3, first 2 shown]
	v_add_co_u32 v4, vcc_lo, v13, v7
	v_add_co_ci_u32_e32 v7, vcc_lo, 0, v8, vcc_lo
	v_add_co_u32 v4, vcc_lo, v4, v9
	v_add_co_ci_u32_e32 v4, vcc_lo, v7, v10, vcc_lo
	v_add_co_ci_u32_e32 v7, vcc_lo, 0, v12, vcc_lo
	v_add_co_u32 v4, vcc_lo, v4, v11
	v_add_co_ci_u32_e32 v9, vcc_lo, 0, v7, vcc_lo
	v_mul_lo_u32 v10, s25, v4
	v_mad_u64_u32 v[7:8], null, s24, v4, 0
	v_mul_lo_u32 v11, s24, v9
	v_sub_co_u32 v7, vcc_lo, v5, v7
	v_add3_u32 v8, v8, v11, v10
	v_sub_nc_u32_e32 v10, v6, v8
	v_subrev_co_ci_u32_e64 v10, s0, s25, v10, vcc_lo
	v_add_co_u32 v11, s0, v4, 2
	v_add_co_ci_u32_e64 v12, s0, 0, v9, s0
	v_sub_co_u32 v13, s0, v7, s24
	v_sub_co_ci_u32_e32 v8, vcc_lo, v6, v8, vcc_lo
	v_subrev_co_ci_u32_e64 v10, s0, 0, v10, s0
	v_cmp_le_u32_e32 vcc_lo, s24, v13
	v_cmp_eq_u32_e64 s0, s25, v8
	v_cndmask_b32_e64 v13, 0, -1, vcc_lo
	v_cmp_le_u32_e32 vcc_lo, s25, v10
	v_cndmask_b32_e64 v14, 0, -1, vcc_lo
	v_cmp_le_u32_e32 vcc_lo, s24, v7
	;; [unrolled: 2-line block ×3, first 2 shown]
	v_cndmask_b32_e64 v15, 0, -1, vcc_lo
	v_cmp_eq_u32_e32 vcc_lo, s25, v10
	v_cndmask_b32_e64 v7, v15, v7, s0
	v_cndmask_b32_e32 v10, v14, v13, vcc_lo
	v_add_co_u32 v13, vcc_lo, v4, 1
	v_add_co_ci_u32_e32 v14, vcc_lo, 0, v9, vcc_lo
	v_cmp_ne_u32_e32 vcc_lo, 0, v10
	v_cndmask_b32_e32 v8, v14, v12, vcc_lo
	v_cndmask_b32_e32 v10, v13, v11, vcc_lo
	v_cmp_ne_u32_e32 vcc_lo, 0, v7
	v_cndmask_b32_e32 v73, v9, v8, vcc_lo
	v_cndmask_b32_e32 v72, v4, v10, vcc_lo
.LBB0_4:                                ;   in Loop: Header=BB0_2 Depth=1
	s_andn2_saveexec_b32 s0, s1
	s_cbranch_execz .LBB0_6
; %bb.5:                                ;   in Loop: Header=BB0_2 Depth=1
	v_cvt_f32_u32_e32 v4, s24
	s_sub_i32 s1, 0, s24
	v_mov_b32_e32 v73, v3
	v_rcp_iflag_f32_e32 v4, v4
	v_mul_f32_e32 v4, 0x4f7ffffe, v4
	v_cvt_u32_f32_e32 v4, v4
	v_mul_lo_u32 v7, s1, v4
	v_mul_hi_u32 v7, v4, v7
	v_add_nc_u32_e32 v4, v4, v7
	v_mul_hi_u32 v4, v5, v4
	v_mul_lo_u32 v7, v4, s24
	v_add_nc_u32_e32 v8, 1, v4
	v_sub_nc_u32_e32 v7, v5, v7
	v_subrev_nc_u32_e32 v9, s24, v7
	v_cmp_le_u32_e32 vcc_lo, s24, v7
	v_cndmask_b32_e32 v7, v7, v9, vcc_lo
	v_cndmask_b32_e32 v4, v4, v8, vcc_lo
	v_cmp_le_u32_e32 vcc_lo, s24, v7
	v_add_nc_u32_e32 v8, 1, v4
	v_cndmask_b32_e32 v72, v4, v8, vcc_lo
.LBB0_6:                                ;   in Loop: Header=BB0_2 Depth=1
	s_or_b32 exec_lo, exec_lo, s0
	v_mul_lo_u32 v4, v73, s24
	v_mul_lo_u32 v9, v72, s25
	s_load_dwordx2 s[0:1], s[6:7], 0x0
	v_mad_u64_u32 v[7:8], null, v72, s24, 0
	s_load_dwordx2 s[24:25], s[2:3], 0x0
	s_add_u32 s22, s22, 1
	s_addc_u32 s23, s23, 0
	s_add_u32 s2, s2, 8
	s_addc_u32 s3, s3, 0
	s_add_u32 s6, s6, 8
	v_add3_u32 v4, v8, v9, v4
	v_sub_co_u32 v5, vcc_lo, v5, v7
	s_addc_u32 s7, s7, 0
	s_add_u32 s20, s20, 8
	v_sub_co_ci_u32_e32 v4, vcc_lo, v6, v4, vcc_lo
	s_addc_u32 s21, s21, 0
	s_waitcnt lgkmcnt(0)
	v_mul_lo_u32 v6, s0, v4
	v_mul_lo_u32 v7, s1, v5
	v_mad_u64_u32 v[1:2], null, s0, v5, v[1:2]
	v_mul_lo_u32 v4, s24, v4
	v_mul_lo_u32 v8, s25, v5
	v_mad_u64_u32 v[68:69], null, s24, v5, v[68:69]
	v_cmp_ge_u64_e64 s0, s[22:23], s[14:15]
	v_add3_u32 v2, v7, v2, v6
	v_add3_u32 v69, v8, v69, v4
	s_and_b32 vcc_lo, exec_lo, s0
	s_cbranch_vccnz .LBB0_9
; %bb.7:                                ;   in Loop: Header=BB0_2 Depth=1
	v_mov_b32_e32 v5, v72
	v_mov_b32_e32 v6, v73
	s_branch .LBB0_2
.LBB0_8:
	v_mov_b32_e32 v69, v2
	v_mov_b32_e32 v73, v6
	;; [unrolled: 1-line block ×4, first 2 shown]
.LBB0_9:
	s_load_dwordx2 s[0:1], s[4:5], 0x28
	v_mul_hi_u32 v3, 0x1ac5702, v0
	s_lshl_b64 s[4:5], s[14:15], 3
                                        ; implicit-def: $vgpr70
	s_add_u32 s2, s18, s4
	s_addc_u32 s3, s19, s5
	s_waitcnt lgkmcnt(0)
	v_cmp_gt_u64_e32 vcc_lo, s[0:1], v[72:73]
	v_cmp_le_u64_e64 s0, s[0:1], v[72:73]
	s_and_saveexec_b32 s1, s0
	s_xor_b32 s0, exec_lo, s1
; %bb.10:
	v_mul_u32_u24_e32 v1, 0x99, v3
                                        ; implicit-def: $vgpr3
	v_sub_nc_u32_e32 v70, v0, v1
                                        ; implicit-def: $vgpr0
                                        ; implicit-def: $vgpr1_vgpr2
; %bb.11:
	s_andn2_saveexec_b32 s1, s0
	s_cbranch_execz .LBB0_13
; %bb.12:
	s_add_u32 s4, s16, s4
	s_addc_u32 s5, s17, s5
	v_lshlrev_b64 v[1:2], 4, v[1:2]
	s_load_dwordx2 s[4:5], s[4:5], 0x0
	s_waitcnt lgkmcnt(0)
	v_mul_lo_u32 v6, s5, v72
	v_mul_lo_u32 v7, s4, v73
	v_mad_u64_u32 v[4:5], null, s4, v72, 0
	v_add3_u32 v5, v5, v7, v6
	v_mul_u32_u24_e32 v6, 0x99, v3
	v_lshlrev_b64 v[3:4], 4, v[4:5]
	v_sub_nc_u32_e32 v70, v0, v6
	v_lshlrev_b32_e32 v48, 4, v70
	v_add_co_u32 v0, s0, s8, v3
	v_add_co_ci_u32_e64 v3, s0, s9, v4, s0
	v_add_co_u32 v0, s0, v0, v1
	v_add_co_ci_u32_e64 v1, s0, v3, v2, s0
	;; [unrolled: 2-line block ×3, first 2 shown]
	v_add_nc_u32_e32 v48, 0, v48
	v_add_co_u32 v4, s0, 0x800, v24
	v_add_co_ci_u32_e64 v5, s0, 0, v25, s0
	v_add_co_u32 v8, s0, 0x1000, v24
	v_add_co_ci_u32_e64 v9, s0, 0, v25, s0
	;; [unrolled: 2-line block ×11, first 2 shown]
	s_clause 0xb
	global_load_dwordx4 v[0:3], v[24:25], off
	global_load_dwordx4 v[4:7], v[4:5], off offset:400
	global_load_dwordx4 v[8:11], v[8:9], off offset:800
	;; [unrolled: 1-line block ×11, first 2 shown]
	s_waitcnt vmcnt(11)
	ds_write_b128 v48, v[0:3]
	s_waitcnt vmcnt(10)
	ds_write_b128 v48, v[4:7] offset:2448
	s_waitcnt vmcnt(9)
	ds_write_b128 v48, v[8:11] offset:4896
	;; [unrolled: 2-line block ×11, first 2 shown]
.LBB0_13:
	s_or_b32 exec_lo, exec_lo, s1
	v_lshl_add_u32 v106, v70, 4, 0
	s_waitcnt lgkmcnt(0)
	s_barrier
	buffer_gl0_inv
	s_mov_b32 s33, exec_lo
	ds_read_b128 v[0:3], v106
	ds_read_b128 v[64:67], v106 offset:1728
	ds_read_b128 v[60:63], v106 offset:3456
	;; [unrolled: 1-line block ×16, first 2 shown]
	s_waitcnt lgkmcnt(0)
	s_barrier
	buffer_gl0_inv
	v_cmpx_gt_u32_e32 0x6c, v70
	s_cbranch_execz .LBB0_15
; %bb.14:
	v_add_f64 v[74:75], v[2:3], v[66:67]
	v_add_f64 v[76:77], v[0:1], v[64:65]
	v_add_f64 v[104:105], v[64:65], -v[4:5]
	v_add_f64 v[102:103], v[66:67], -v[6:7]
	s_mov_b32 s4, 0xacd6c6b4
	s_mov_b32 s5, 0xbfc7851a
	v_add_f64 v[96:97], v[60:61], -v[8:9]
	v_add_f64 v[92:93], v[62:63], -v[10:11]
	v_add_f64 v[98:99], v[66:67], v[6:7]
	v_add_f64 v[100:101], v[64:65], v[4:5]
	s_mov_b32 s8, 0x5d8e7cdc
	s_mov_b32 s0, 0x7faef3
	;; [unrolled: 1-line block ×4, first 2 shown]
	v_add_f64 v[94:95], v[56:57], -v[12:13]
	v_add_f64 v[88:89], v[58:59], -v[14:15]
	v_add_f64 v[66:67], v[62:63], v[10:11]
	s_mov_b32 s16, 0x4363dd80
	s_mov_b32 s6, 0x370991
	;; [unrolled: 1-line block ×4, first 2 shown]
	v_add_f64 v[90:91], v[52:53], -v[16:17]
	v_add_f64 v[74:75], v[74:75], v[62:63]
	v_add_f64 v[76:77], v[76:77], v[60:61]
	v_mul_f64 v[107:108], v[104:105], s[4:5]
	v_mul_f64 v[109:110], v[102:103], s[4:5]
	v_add_f64 v[60:61], v[60:61], v[8:9]
	v_add_f64 v[84:85], v[54:55], -v[18:19]
	v_mul_f64 v[111:112], v[96:97], s[8:9]
	v_mul_f64 v[113:114], v[92:93], s[8:9]
	v_add_f64 v[64:65], v[58:59], v[14:15]
	s_mov_b32 s28, 0x2a9d6da3
	s_mov_b32 s14, 0x910ea3b9
	;; [unrolled: 1-line block ×4, first 2 shown]
	v_add_f64 v[86:87], v[48:49], -v[20:21]
	v_mul_f64 v[115:116], v[94:95], s[16:17]
	v_mul_f64 v[117:118], v[88:89], s[16:17]
	v_add_f64 v[82:83], v[50:51], -v[22:23]
	s_mov_b32 s24, 0x6c9a05f6
	s_mov_b32 s18, 0x75d4884
	s_mov_b32 s25, 0xbfe9895b
	s_mov_b32 s19, 0x3fe7a5f6
	v_mul_f64 v[119:120], v[90:91], s[28:29]
	v_add_f64 v[74:75], v[74:75], v[58:59]
	v_add_f64 v[76:77], v[76:77], v[56:57]
	;; [unrolled: 1-line block ×3, first 2 shown]
	v_fma_f64 v[78:79], v[100:101], s[0:1], -v[109:110]
	s_mov_b32 s26, 0x7c9e640b
	v_mul_f64 v[121:122], v[84:85], s[28:29]
	s_mov_b32 s20, 0x6ed5f1bb
	v_fma_f64 v[80:81], v[60:61], s[6:7], -v[113:114]
	s_mov_b32 s27, 0x3feca52d
	s_mov_b32 s21, 0xbfe348c8
	;; [unrolled: 1-line block ×5, first 2 shown]
	v_mul_f64 v[127:128], v[86:87], s[24:25]
	v_fma_f64 v[123:124], v[64:65], s[14:15], v[115:116]
	s_mov_b32 s23, 0x3fdc86fa
	v_mul_f64 v[129:130], v[82:83], s[24:25]
	s_mov_b32 s50, 0xeb564b22
	s_mov_b32 s30, 0xc61f0d01
	;; [unrolled: 1-line block ×5, first 2 shown]
	v_add_f64 v[62:63], v[74:75], v[54:55]
	v_add_f64 v[74:75], v[76:77], v[52:53]
	v_fma_f64 v[76:77], v[98:99], s[0:1], v[107:108]
	v_add_f64 v[78:79], v[0:1], v[78:79]
	v_add_f64 v[54:55], v[54:55], v[18:19]
	;; [unrolled: 1-line block ×3, first 2 shown]
	v_fma_f64 v[125:126], v[56:57], s[14:15], -v[117:118]
	s_mov_b32 s37, 0x3fb79ee6
	v_fma_f64 v[107:108], v[98:99], s[0:1], -v[107:108]
	s_mov_b32 s39, 0xbfefdd0d
	s_mov_b32 s43, 0x3feec746
	;; [unrolled: 1-line block ×4, first 2 shown]
	v_mul_f64 v[153:154], v[102:103], s[24:25]
	v_mul_f64 v[155:156], v[94:95], s[38:39]
	;; [unrolled: 1-line block ×4, first 2 shown]
	v_fma_f64 v[113:114], v[60:61], s[6:7], v[113:114]
	s_mov_b32 s49, 0x3fe9895b
	s_mov_b32 s41, 0xbfd71e95
	;; [unrolled: 1-line block ×4, first 2 shown]
	v_add_f64 v[58:59], v[62:63], v[50:51]
	v_add_f64 v[62:63], v[74:75], v[48:49]
	v_fma_f64 v[74:75], v[66:67], s[6:7], v[111:112]
	v_add_f64 v[76:77], v[2:3], v[76:77]
	v_add_f64 v[50:51], v[50:51], v[22:23]
	;; [unrolled: 1-line block ×3, first 2 shown]
	v_fma_f64 v[131:132], v[54:55], s[18:19], v[119:120]
	v_fma_f64 v[133:134], v[52:53], s[18:19], -v[121:122]
	v_fma_f64 v[111:112], v[66:67], s[6:7], -v[111:112]
	v_add_f64 v[107:108], v[2:3], v[107:108]
	v_fma_f64 v[115:116], v[64:65], s[14:15], -v[115:116]
	v_fma_f64 v[117:118], v[56:57], s[14:15], v[117:118]
	v_fma_f64 v[119:120], v[54:55], s[18:19], -v[119:120]
	v_fma_f64 v[121:122], v[52:53], s[18:19], v[121:122]
	s_mov_b32 s47, 0x3fe0d888
	s_mov_b32 s46, s16
	;; [unrolled: 1-line block ×6, first 2 shown]
	v_add_f64 v[58:59], v[58:59], v[46:47]
	v_add_f64 v[62:63], v[62:63], v[44:45]
	;; [unrolled: 1-line block ×4, first 2 shown]
	v_add_f64 v[80:81], v[44:45], -v[24:25]
	v_add_f64 v[78:79], v[46:47], -v[26:27]
	v_add_f64 v[46:47], v[46:47], v[26:27]
	v_add_f64 v[44:45], v[44:45], v[24:25]
	v_fma_f64 v[143:144], v[50:51], s[20:21], v[127:128]
	v_fma_f64 v[145:146], v[48:49], s[20:21], -v[129:130]
	v_add_f64 v[107:108], v[111:112], v[107:108]
	v_mul_f64 v[111:112], v[92:93], s[42:43]
	v_fma_f64 v[127:128], v[50:51], s[20:21], -v[127:128]
	v_fma_f64 v[129:130], v[48:49], s[20:21], v[129:130]
	v_add_f64 v[58:59], v[58:59], v[42:43]
	v_add_f64 v[62:63], v[62:63], v[40:41]
	;; [unrolled: 1-line block ×4, first 2 shown]
	v_add_f64 v[76:77], v[40:41], -v[28:29]
	v_add_f64 v[74:75], v[42:43], -v[30:31]
	v_mul_f64 v[139:140], v[80:81], s[26:27]
	v_mul_f64 v[141:142], v[78:79], s[26:27]
	v_add_f64 v[42:43], v[42:43], v[30:31]
	v_add_f64 v[40:41], v[40:41], v[28:29]
	;; [unrolled: 1-line block ×3, first 2 shown]
	v_mul_f64 v[115:116], v[86:87], s[40:41]
	v_add_f64 v[135:136], v[58:59], v[34:35]
	v_add_f64 v[137:138], v[62:63], v[32:33]
	v_add_f64 v[62:63], v[32:33], -v[36:37]
	v_add_f64 v[123:124], v[131:132], v[123:124]
	v_add_f64 v[125:126], v[133:134], v[125:126]
	v_add_f64 v[58:59], v[34:35], -v[38:39]
	v_add_f64 v[34:35], v[34:35], v[38:39]
	v_fma_f64 v[147:148], v[46:47], s[22:23], v[139:140]
	v_fma_f64 v[149:150], v[44:45], s[22:23], -v[141:142]
	v_add_f64 v[32:33], v[32:33], v[36:37]
	v_fma_f64 v[139:140], v[46:47], s[22:23], -v[139:140]
	v_add_f64 v[107:108], v[119:120], v[107:108]
	v_mul_f64 v[119:120], v[78:79], s[4:5]
	v_fma_f64 v[141:142], v[44:45], s[22:23], v[141:142]
	v_add_f64 v[131:132], v[135:136], v[38:39]
	v_add_f64 v[133:134], v[137:138], v[36:37]
	v_mul_f64 v[135:136], v[76:77], s[34:35]
	v_mul_f64 v[137:138], v[74:75], s[34:35]
	v_add_f64 v[123:124], v[143:144], v[123:124]
	v_add_f64 v[125:126], v[145:146], v[125:126]
	v_mul_f64 v[145:146], v[102:103], s[16:17]
	v_add_f64 v[107:108], v[127:128], v[107:108]
	v_mul_f64 v[127:128], v[62:63], s[34:35]
	v_add_f64 v[36:37], v[131:132], v[30:31]
	v_add_f64 v[38:39], v[133:134], v[28:29]
	v_mul_f64 v[28:29], v[62:63], s[50:51]
	v_mul_f64 v[30:31], v[58:59], s[50:51]
	;; [unrolled: 1-line block ×3, first 2 shown]
	v_fma_f64 v[133:134], v[42:43], s[30:31], v[135:136]
	v_fma_f64 v[143:144], v[40:41], s[30:31], -v[137:138]
	v_add_f64 v[123:124], v[147:148], v[123:124]
	v_add_f64 v[125:126], v[149:150], v[125:126]
	v_fma_f64 v[151:152], v[100:101], s[14:15], -v[145:146]
	v_fma_f64 v[145:146], v[100:101], s[14:15], v[145:146]
	v_add_f64 v[107:108], v[139:140], v[107:108]
	v_fma_f64 v[135:136], v[42:43], s[30:31], -v[135:136]
	v_fma_f64 v[137:138], v[40:41], s[30:31], v[137:138]
	v_mul_f64 v[139:140], v[58:59], s[34:35]
	v_add_f64 v[26:27], v[36:37], v[26:27]
	v_add_f64 v[24:25], v[38:39], v[24:25]
	v_mul_f64 v[36:37], v[96:97], s[26:27]
	v_fma_f64 v[38:39], v[100:101], s[0:1], v[109:110]
	v_fma_f64 v[109:110], v[34:35], s[36:37], v[28:29]
	v_fma_f64 v[147:148], v[32:33], s[36:37], -v[30:31]
	v_fma_f64 v[149:150], v[98:99], s[14:15], v[131:132]
	v_add_f64 v[123:124], v[133:134], v[123:124]
	v_add_f64 v[125:126], v[143:144], v[125:126]
	v_mul_f64 v[133:134], v[104:105], s[24:25]
	v_mul_f64 v[143:144], v[92:93], s[26:27]
	v_fma_f64 v[131:132], v[98:99], s[14:15], -v[131:132]
	v_add_f64 v[145:146], v[0:1], v[145:146]
	v_add_f64 v[107:108], v[135:136], v[107:108]
	v_fma_f64 v[30:31], v[32:33], s[36:37], v[30:31]
	v_add_f64 v[26:27], v[26:27], v[22:23]
	v_add_f64 v[24:25], v[24:25], v[20:21]
	v_fma_f64 v[161:162], v[66:67], s[22:23], v[36:37]
	v_add_f64 v[38:39], v[0:1], v[38:39]
	v_fma_f64 v[36:37], v[66:67], s[22:23], -v[36:37]
	v_add_f64 v[149:150], v[2:3], v[149:150]
	v_add_f64 v[22:23], v[109:110], v[123:124]
	;; [unrolled: 1-line block ×3, first 2 shown]
	v_fma_f64 v[109:110], v[98:99], s[20:21], v[133:134]
	v_fma_f64 v[123:124], v[60:61], s[22:23], -v[143:144]
	v_add_f64 v[125:126], v[0:1], v[151:152]
	v_add_f64 v[131:132], v[2:3], v[131:132]
	v_fma_f64 v[143:144], v[60:61], s[22:23], v[143:144]
	v_fma_f64 v[133:134], v[98:99], s[20:21], -v[133:134]
	v_fma_f64 v[151:152], v[64:65], s[36:37], -v[155:156]
	v_add_f64 v[18:19], v[26:27], v[18:19]
	v_add_f64 v[16:17], v[24:25], v[16:17]
	v_mul_f64 v[24:25], v[90:91], s[48:49]
	v_mul_f64 v[26:27], v[94:95], s[40:41]
	v_add_f64 v[38:39], v[113:114], v[38:39]
	v_fma_f64 v[113:114], v[100:101], s[20:21], -v[153:154]
	v_add_f64 v[147:148], v[161:162], v[149:150]
	v_fma_f64 v[149:150], v[66:67], s[30:31], v[157:158]
	v_fma_f64 v[157:158], v[66:67], s[30:31], -v[157:158]
	v_add_f64 v[109:110], v[2:3], v[109:110]
	v_fma_f64 v[153:154], v[100:101], s[20:21], v[153:154]
	v_add_f64 v[123:124], v[123:124], v[125:126]
	v_fma_f64 v[125:126], v[64:65], s[36:37], v[155:156]
	v_add_f64 v[36:37], v[36:37], v[131:132]
	v_fma_f64 v[131:132], v[56:57], s[36:37], -v[159:160]
	v_add_f64 v[143:144], v[143:144], v[145:146]
	v_mul_f64 v[145:146], v[84:85], s[48:49]
	v_fma_f64 v[155:156], v[56:57], s[36:37], v[159:160]
	v_add_f64 v[133:134], v[2:3], v[133:134]
	v_fma_f64 v[159:160], v[34:35], s[36:37], -v[28:29]
	v_mul_f64 v[28:29], v[62:63], s[26:27]
	v_add_f64 v[14:15], v[18:19], v[14:15]
	v_add_f64 v[12:13], v[16:17], v[12:13]
	v_mul_f64 v[16:17], v[88:89], s[40:41]
	v_mul_f64 v[18:19], v[90:91], s[16:17]
	v_add_f64 v[38:39], v[117:118], v[38:39]
	v_fma_f64 v[117:118], v[60:61], s[30:31], -v[111:112]
	v_add_f64 v[113:114], v[0:1], v[113:114]
	v_fma_f64 v[111:112], v[60:61], s[30:31], v[111:112]
	v_add_f64 v[109:110], v[149:150], v[109:110]
	v_fma_f64 v[149:150], v[64:65], s[6:7], v[26:27]
	v_fma_f64 v[26:27], v[64:65], s[6:7], -v[26:27]
	v_add_f64 v[125:126], v[125:126], v[147:148]
	v_fma_f64 v[147:148], v[54:55], s[20:21], v[24:25]
	v_add_f64 v[123:124], v[131:132], v[123:124]
	v_add_f64 v[36:37], v[151:152], v[36:37]
	v_fma_f64 v[131:132], v[52:53], s[20:21], -v[145:146]
	v_mul_f64 v[151:152], v[82:83], s[40:41]
	v_fma_f64 v[24:25], v[54:55], s[20:21], -v[24:25]
	v_add_f64 v[143:144], v[155:156], v[143:144]
	v_mul_f64 v[155:156], v[80:81], s[4:5]
	v_fma_f64 v[145:146], v[52:53], s[20:21], v[145:146]
	v_add_f64 v[133:134], v[157:158], v[133:134]
	v_add_f64 v[153:154], v[0:1], v[153:154]
	v_fma_f64 v[157:158], v[56:57], s[6:7], -v[16:17]
	v_fma_f64 v[16:17], v[56:57], s[6:7], v[16:17]
	v_add_f64 v[38:39], v[121:122], v[38:39]
	v_mul_f64 v[121:122], v[84:85], s[16:17]
	v_add_f64 v[113:114], v[117:118], v[113:114]
	v_mul_f64 v[117:118], v[86:87], s[50:51]
	v_add_f64 v[161:162], v[14:15], v[10:11]
	v_add_f64 v[163:164], v[12:13], v[8:9]
	;; [unrolled: 1-line block ×3, first 2 shown]
	v_fma_f64 v[149:150], v[54:55], s[14:15], v[18:19]
	v_fma_f64 v[18:19], v[54:55], s[14:15], -v[18:19]
	v_add_f64 v[125:126], v[147:148], v[125:126]
	v_fma_f64 v[147:148], v[50:51], s[6:7], v[115:116]
	v_fma_f64 v[115:116], v[50:51], s[6:7], -v[115:116]
	v_add_f64 v[123:124], v[131:132], v[123:124]
	v_fma_f64 v[131:132], v[48:49], s[6:7], -v[151:152]
	v_add_f64 v[24:25], v[24:25], v[36:37]
	v_mul_f64 v[36:37], v[76:77], s[28:29]
	v_fma_f64 v[151:152], v[48:49], s[6:7], v[151:152]
	v_add_f64 v[143:144], v[145:146], v[143:144]
	v_mul_f64 v[145:146], v[74:75], s[28:29]
	v_add_f64 v[26:27], v[26:27], v[133:134]
	v_mul_f64 v[133:134], v[96:97], s[46:47]
	v_add_f64 v[111:112], v[111:112], v[153:154]
	v_add_f64 v[38:39], v[129:130], v[38:39]
	v_mul_f64 v[129:130], v[82:83], s[50:51]
	v_add_f64 v[113:114], v[157:158], v[113:114]
	v_fma_f64 v[157:158], v[52:53], s[14:15], -v[121:122]
	v_mul_f64 v[153:154], v[76:77], s[4:5]
	v_fma_f64 v[12:13], v[34:35], s[30:31], v[127:128]
	v_fma_f64 v[121:122], v[52:53], s[14:15], v[121:122]
	v_add_f64 v[109:110], v[149:150], v[109:110]
	v_mul_f64 v[149:150], v[104:105], s[34:35]
	v_add_f64 v[10:11], v[159:160], v[107:108]
	v_add_f64 v[125:126], v[147:148], v[125:126]
	v_fma_f64 v[147:148], v[50:51], s[36:37], v[117:118]
	v_mul_f64 v[107:108], v[104:105], s[38:39]
	v_add_f64 v[123:124], v[131:132], v[123:124]
	v_fma_f64 v[131:132], v[46:47], s[0:1], v[155:156]
	v_add_f64 v[24:25], v[115:116], v[24:25]
	v_fma_f64 v[115:116], v[44:45], s[0:1], -v[119:120]
	v_fma_f64 v[155:156], v[46:47], s[0:1], -v[155:156]
	v_add_f64 v[143:144], v[151:152], v[143:144]
	v_fma_f64 v[119:120], v[44:45], s[0:1], v[119:120]
	v_mul_f64 v[151:152], v[80:81], s[44:45]
	v_fma_f64 v[14:15], v[66:67], s[14:15], v[133:134]
	v_add_f64 v[38:39], v[141:142], v[38:39]
	v_mul_f64 v[141:142], v[78:79], s[44:45]
	v_fma_f64 v[135:136], v[48:49], s[36:37], -v[129:130]
	v_add_f64 v[113:114], v[157:158], v[113:114]
	v_mul_f64 v[157:158], v[102:103], s[34:35]
	v_add_f64 v[16:17], v[16:17], v[111:112]
	v_fma_f64 v[111:112], v[32:33], s[30:31], -v[139:140]
	v_add_f64 v[26:27], v[18:19], v[26:27]
	v_fma_f64 v[133:134], v[66:67], s[14:15], -v[133:134]
	v_fma_f64 v[127:128], v[34:35], s[30:31], -v[127:128]
	v_fma_f64 v[139:140], v[32:33], s[30:31], v[139:140]
	v_add_f64 v[109:110], v[147:148], v[109:110]
	v_fma_f64 v[147:148], v[98:99], s[30:31], v[149:150]
	v_add_f64 v[6:7], v[161:162], v[6:7]
	v_add_f64 v[125:126], v[131:132], v[125:126]
	v_fma_f64 v[131:132], v[42:43], s[18:19], v[36:37]
	v_add_f64 v[115:116], v[115:116], v[123:124]
	v_fma_f64 v[123:124], v[40:41], s[18:19], -v[145:146]
	v_add_f64 v[24:25], v[155:156], v[24:25]
	v_fma_f64 v[36:37], v[42:43], s[18:19], -v[36:37]
	v_add_f64 v[119:120], v[119:120], v[143:144]
	v_mul_f64 v[143:144], v[94:95], s[28:29]
	v_add_f64 v[38:39], v[137:138], v[38:39]
	v_fma_f64 v[145:146], v[40:41], s[18:19], v[145:146]
	v_mul_f64 v[155:156], v[74:75], s[4:5]
	v_fma_f64 v[137:138], v[46:47], s[18:19], v[151:152]
	v_add_f64 v[113:114], v[135:136], v[113:114]
	v_fma_f64 v[135:136], v[44:45], s[18:19], -v[141:142]
	v_fma_f64 v[18:19], v[100:101], s[30:31], v[157:158]
	v_mul_f64 v[159:160], v[102:103], s[38:39]
	v_mul_f64 v[161:162], v[86:87], s[4:5]
	v_fma_f64 v[117:118], v[50:51], s[36:37], -v[117:118]
	v_fma_f64 v[151:152], v[46:47], s[18:19], -v[151:152]
	v_add_f64 v[4:5], v[163:164], v[4:5]
	v_add_f64 v[147:148], v[2:3], v[147:148]
	;; [unrolled: 1-line block ×3, first 2 shown]
	v_mul_f64 v[131:132], v[92:93], s[46:47]
	v_add_f64 v[115:116], v[123:124], v[115:116]
	v_fma_f64 v[123:124], v[100:101], s[30:31], -v[157:158]
	v_add_f64 v[24:25], v[36:37], v[24:25]
	v_fma_f64 v[36:37], v[98:99], s[30:31], -v[149:150]
	v_mul_f64 v[157:158], v[88:89], s[28:29]
	v_add_f64 v[8:9], v[30:31], v[38:39]
	v_add_f64 v[38:39], v[145:146], v[119:120]
	v_fma_f64 v[145:146], v[64:65], s[18:19], v[143:144]
	v_add_f64 v[109:110], v[137:138], v[109:110]
	v_fma_f64 v[137:138], v[42:43], s[0:1], v[153:154]
	v_mul_f64 v[30:31], v[58:59], s[26:27]
	v_fma_f64 v[143:144], v[64:65], s[18:19], -v[143:144]
	v_fma_f64 v[153:154], v[42:43], s[0:1], -v[153:154]
	v_add_f64 v[117:118], v[117:118], v[26:27]
	v_add_f64 v[119:120], v[14:15], v[147:148]
	v_mul_f64 v[147:148], v[90:91], s[52:53]
	v_add_f64 v[14:15], v[12:13], v[125:126]
	v_fma_f64 v[149:150], v[60:61], s[14:15], -v[131:132]
	v_add_f64 v[12:13], v[111:112], v[115:116]
	v_add_f64 v[123:124], v[0:1], v[123:124]
	;; [unrolled: 1-line block ×4, first 2 shown]
	v_fma_f64 v[113:114], v[40:41], s[0:1], -v[155:156]
	v_add_f64 v[115:116], v[121:122], v[16:17]
	v_fma_f64 v[121:122], v[48:49], s[36:37], v[129:130]
	v_fma_f64 v[125:126], v[60:61], s[14:15], v[131:132]
	v_add_f64 v[129:130], v[0:1], v[18:19]
	v_fma_f64 v[131:132], v[98:99], s[36:37], v[107:108]
	v_mul_f64 v[135:136], v[96:97], s[4:5]
	v_add_f64 v[18:19], v[127:128], v[24:25]
	v_add_f64 v[24:25], v[137:138], v[109:110]
	v_fma_f64 v[109:110], v[34:35], s[22:23], v[28:29]
	v_add_f64 v[16:17], v[139:140], v[38:39]
	v_mul_f64 v[137:138], v[92:93], s[4:5]
	v_fma_f64 v[139:140], v[50:51], s[0:1], v[161:162]
	v_add_f64 v[119:120], v[145:146], v[119:120]
	v_fma_f64 v[145:146], v[54:55], s[22:23], v[147:148]
	v_fma_f64 v[147:148], v[54:55], s[22:23], -v[147:148]
	v_fma_f64 v[107:108], v[98:99], s[36:37], -v[107:108]
	v_add_f64 v[117:118], v[151:152], v[117:118]
	v_mul_f64 v[151:152], v[74:75], s[40:41]
	v_add_f64 v[123:124], v[149:150], v[123:124]
	v_fma_f64 v[149:150], v[56:57], s[18:19], -v[157:158]
	v_add_f64 v[36:37], v[133:134], v[36:37]
	v_mul_f64 v[133:134], v[84:85], s[52:53]
	v_add_f64 v[38:39], v[113:114], v[111:112]
	v_fma_f64 v[111:112], v[32:33], s[22:23], -v[30:31]
	v_add_f64 v[113:114], v[121:122], v[115:116]
	v_add_f64 v[115:116], v[125:126], v[129:130]
	v_fma_f64 v[121:122], v[56:57], s[18:19], v[157:158]
	v_add_f64 v[125:126], v[2:3], v[131:132]
	v_fma_f64 v[127:128], v[66:67], s[0:1], v[135:136]
	v_mul_f64 v[129:130], v[94:95], s[42:43]
	v_fma_f64 v[131:132], v[100:101], s[36:37], -v[159:160]
	v_add_f64 v[26:27], v[109:110], v[24:25]
	v_fma_f64 v[109:110], v[44:45], s[18:19], v[141:142]
	v_fma_f64 v[157:158], v[50:51], s[0:1], -v[161:162]
	v_fma_f64 v[135:136], v[66:67], s[0:1], -v[135:136]
	v_add_f64 v[119:120], v[145:146], v[119:120]
	v_mul_f64 v[145:146], v[80:81], s[50:51]
	v_add_f64 v[107:108], v[2:3], v[107:108]
	v_fma_f64 v[28:29], v[34:35], s[22:23], -v[28:29]
	v_add_f64 v[123:124], v[149:150], v[123:124]
	v_add_f64 v[36:37], v[143:144], v[36:37]
	v_fma_f64 v[149:150], v[52:53], s[22:23], -v[133:134]
	v_mul_f64 v[143:144], v[82:83], s[4:5]
	v_add_f64 v[24:25], v[111:112], v[38:39]
	v_fma_f64 v[111:112], v[52:53], s[22:23], v[133:134]
	v_mul_f64 v[133:134], v[88:89], s[42:43]
	v_add_f64 v[38:39], v[121:122], v[115:116]
	v_add_f64 v[115:116], v[127:128], v[125:126]
	v_fma_f64 v[121:122], v[64:65], s[30:31], v[129:130]
	v_mul_f64 v[125:126], v[90:91], s[8:9]
	v_add_f64 v[127:128], v[0:1], v[131:132]
	v_fma_f64 v[131:132], v[60:61], s[0:1], -v[137:138]
	v_add_f64 v[109:110], v[109:110], v[113:114]
	v_fma_f64 v[137:138], v[60:61], s[0:1], v[137:138]
	v_add_f64 v[119:120], v[139:140], v[119:120]
	v_fma_f64 v[139:140], v[46:47], s[36:37], v[145:146]
	v_fma_f64 v[145:146], v[46:47], s[36:37], -v[145:146]
	v_add_f64 v[107:108], v[135:136], v[107:108]
	v_fma_f64 v[129:130], v[64:65], s[30:31], -v[129:130]
	v_mul_f64 v[135:136], v[82:83], s[52:53]
	v_add_f64 v[36:37], v[147:148], v[36:37]
	v_add_f64 v[123:124], v[149:150], v[123:124]
	v_fma_f64 v[141:142], v[48:49], s[0:1], -v[143:144]
	v_mul_f64 v[147:148], v[78:79], s[50:51]
	v_fma_f64 v[149:150], v[100:101], s[36:37], v[159:160]
	v_mul_f64 v[159:160], v[104:105], s[52:53]
	v_add_f64 v[38:39], v[111:112], v[38:39]
	v_fma_f64 v[111:112], v[48:49], s[0:1], v[143:144]
	v_mul_f64 v[143:144], v[84:85], s[8:9]
	v_add_f64 v[113:114], v[121:122], v[115:116]
	;; [unrolled: 3-line block ×3, first 2 shown]
	v_fma_f64 v[131:132], v[56:57], s[30:31], -v[133:134]
	v_fma_f64 v[133:134], v[56:57], s[30:31], v[133:134]
	s_mov_b32 s51, 0x3fc7851a
	v_add_f64 v[119:120], v[139:140], v[119:120]
	v_mul_f64 v[139:140], v[76:77], s[40:41]
	s_mov_b32 s50, s4
	v_add_f64 v[107:108], v[129:130], v[107:108]
	v_fma_f64 v[129:130], v[48:49], s[22:23], -v[135:136]
	v_fma_f64 v[125:126], v[54:55], s[6:7], -v[125:126]
	v_add_f64 v[157:158], v[157:158], v[36:37]
	v_fma_f64 v[36:37], v[40:41], s[0:1], v[155:156]
	v_add_f64 v[123:124], v[141:142], v[123:124]
	v_fma_f64 v[141:142], v[44:45], s[36:37], -v[147:148]
	v_add_f64 v[149:150], v[0:1], v[149:150]
	v_mul_f64 v[155:156], v[80:81], s[16:17]
	v_fma_f64 v[147:148], v[44:45], s[36:37], v[147:148]
	v_add_f64 v[111:112], v[111:112], v[38:39]
	v_add_f64 v[38:39], v[153:154], v[117:118]
	v_fma_f64 v[117:118], v[98:99], s[22:23], v[159:160]
	v_add_f64 v[113:114], v[115:116], v[113:114]
	v_fma_f64 v[115:116], v[50:51], s[22:23], v[121:122]
	v_mul_f64 v[153:154], v[102:103], s[52:53]
	v_add_f64 v[127:128], v[131:132], v[127:128]
	v_fma_f64 v[131:132], v[52:53], s[6:7], -v[143:144]
	v_fma_f64 v[121:122], v[50:51], s[22:23], -v[121:122]
	v_fma_f64 v[135:136], v[48:49], s[22:23], v[135:136]
	v_add_f64 v[107:108], v[125:126], v[107:108]
	v_add_f64 v[145:146], v[145:146], v[157:158]
	;; [unrolled: 1-line block ×3, first 2 shown]
	v_mul_f64 v[109:110], v[96:97], s[24:25]
	v_add_f64 v[123:124], v[141:142], v[123:124]
	v_fma_f64 v[141:142], v[42:43], s[6:7], v[139:140]
	v_add_f64 v[137:138], v[137:138], v[149:150]
	v_fma_f64 v[149:150], v[40:41], s[6:7], -v[151:152]
	v_fma_f64 v[157:158], v[98:99], s[22:23], -v[159:160]
	v_add_f64 v[111:112], v[147:148], v[111:112]
	v_add_f64 v[117:118], v[2:3], v[117:118]
	v_fma_f64 v[139:140], v[42:43], s[6:7], -v[139:140]
	v_add_f64 v[113:114], v[115:116], v[113:114]
	v_fma_f64 v[115:116], v[46:47], s[14:15], v[155:156]
	v_fma_f64 v[147:148], v[100:101], s[22:23], -v[153:154]
	v_add_f64 v[127:128], v[131:132], v[127:128]
	v_mul_f64 v[131:132], v[78:79], s[16:17]
	v_fma_f64 v[153:154], v[100:101], s[22:23], v[153:154]
	v_mul_f64 v[125:126], v[74:75], s[48:49]
	v_fma_f64 v[151:152], v[40:41], s[6:7], v[151:152]
	v_fma_f64 v[155:156], v[46:47], s[14:15], -v[155:156]
	v_add_f64 v[107:108], v[121:122], v[107:108]
	v_add_f64 v[119:120], v[141:142], v[119:120]
	;; [unrolled: 1-line block ×3, first 2 shown]
	v_fma_f64 v[137:138], v[52:53], s[6:7], v[143:144]
	v_fma_f64 v[141:142], v[66:67], s[20:21], v[109:110]
	v_mul_f64 v[143:144], v[94:95], s[50:51]
	v_add_f64 v[123:124], v[149:150], v[123:124]
	v_mul_f64 v[149:150], v[92:93], s[24:25]
	v_fma_f64 v[109:110], v[66:67], s[20:21], -v[109:110]
	v_add_f64 v[157:158], v[2:3], v[157:158]
	v_add_f64 v[113:114], v[115:116], v[113:114]
	v_mul_f64 v[115:116], v[76:77], s[48:49]
	v_add_f64 v[127:128], v[129:130], v[127:128]
	v_fma_f64 v[129:130], v[44:45], s[14:15], -v[131:132]
	v_add_f64 v[139:140], v[139:140], v[145:146]
	v_add_f64 v[145:146], v[0:1], v[147:148]
	;; [unrolled: 1-line block ×3, first 2 shown]
	v_fma_f64 v[121:122], v[40:41], s[20:21], -v[125:126]
	v_fma_f64 v[131:132], v[44:45], s[14:15], v[131:132]
	v_add_f64 v[111:112], v[151:152], v[111:112]
	v_mul_f64 v[151:152], v[102:103], s[44:45]
	v_mul_f64 v[102:103], v[102:103], s[40:41]
	v_add_f64 v[107:108], v[155:156], v[107:108]
	v_fma_f64 v[125:126], v[40:41], s[20:21], v[125:126]
	v_add_f64 v[133:134], v[137:138], v[133:134]
	v_add_f64 v[117:118], v[141:142], v[117:118]
	v_fma_f64 v[137:138], v[64:65], s[0:1], v[143:144]
	v_mul_f64 v[141:142], v[90:91], s[42:43]
	v_fma_f64 v[147:148], v[60:61], s[20:21], -v[149:150]
	v_fma_f64 v[143:144], v[64:65], s[0:1], -v[143:144]
	v_add_f64 v[109:110], v[109:110], v[157:158]
	v_mul_f64 v[157:158], v[88:89], s[50:51]
	v_fma_f64 v[149:150], v[60:61], s[20:21], v[149:150]
	v_add_f64 v[127:128], v[129:130], v[127:128]
	v_fma_f64 v[129:130], v[42:43], s[20:21], v[115:116]
	v_fma_f64 v[115:116], v[42:43], s[20:21], -v[115:116]
	v_fma_f64 v[155:156], v[100:101], s[18:19], -v[151:152]
	v_fma_f64 v[151:152], v[100:101], s[18:19], v[151:152]
	v_add_f64 v[133:134], v[135:136], v[133:134]
	v_add_f64 v[117:118], v[137:138], v[117:118]
	v_fma_f64 v[135:136], v[54:55], s[30:31], v[141:142]
	v_mul_f64 v[137:138], v[86:87], s[28:29]
	v_add_f64 v[145:146], v[147:148], v[145:146]
	v_add_f64 v[109:110], v[143:144], v[109:110]
	v_fma_f64 v[147:148], v[56:57], s[0:1], -v[157:158]
	v_mul_f64 v[143:144], v[84:85], s[42:43]
	v_fma_f64 v[141:142], v[54:55], s[30:31], -v[141:142]
	v_add_f64 v[149:150], v[149:150], v[153:154]
	v_mul_f64 v[153:154], v[104:105], s[44:45]
	v_fma_f64 v[157:158], v[56:57], s[0:1], v[157:158]
	v_mul_f64 v[104:105], v[104:105], s[40:41]
	v_add_f64 v[113:114], v[129:130], v[113:114]
	v_add_f64 v[121:122], v[121:122], v[127:128]
	v_add_f64 v[107:108], v[115:116], v[107:108]
	v_add_f64 v[151:152], v[0:1], v[151:152]
	v_add_f64 v[129:130], v[131:132], v[133:134]
	v_mul_f64 v[131:132], v[80:81], s[40:41]
	v_add_f64 v[117:118], v[135:136], v[117:118]
	v_fma_f64 v[127:128], v[50:51], s[18:19], v[137:138]
	v_fma_f64 v[137:138], v[50:51], s[18:19], -v[137:138]
	v_add_f64 v[133:134], v[147:148], v[145:146]
	v_fma_f64 v[135:136], v[52:53], s[30:31], -v[143:144]
	v_add_f64 v[109:110], v[141:142], v[109:110]
	v_mul_f64 v[147:148], v[96:97], s[38:39]
	v_fma_f64 v[141:142], v[98:99], s[18:19], v[153:154]
	v_mul_f64 v[145:146], v[82:83], s[28:29]
	v_add_f64 v[149:150], v[157:158], v[149:150]
	v_fma_f64 v[143:144], v[52:53], s[30:31], v[143:144]
	v_fma_f64 v[153:154], v[98:99], s[18:19], -v[153:154]
	v_fma_f64 v[157:158], v[98:99], s[6:7], v[104:105]
	v_fma_f64 v[98:99], v[98:99], s[6:7], -v[104:105]
	v_fma_f64 v[104:105], v[100:101], s[6:7], -v[102:103]
	v_fma_f64 v[100:101], v[100:101], s[6:7], v[102:103]
	v_mul_f64 v[102:103], v[92:93], s[38:39]
	v_mul_f64 v[96:97], v[96:97], s[44:45]
	;; [unrolled: 1-line block ×3, first 2 shown]
	v_fma_f64 v[115:116], v[46:47], s[6:7], v[131:132]
	v_fma_f64 v[131:132], v[46:47], s[6:7], -v[131:132]
	v_add_f64 v[125:126], v[125:126], v[129:130]
	v_add_f64 v[117:118], v[127:128], v[117:118]
	v_mul_f64 v[129:130], v[62:63], s[24:25]
	v_add_f64 v[127:128], v[135:136], v[133:134]
	v_add_f64 v[109:110], v[137:138], v[109:110]
	v_fma_f64 v[135:136], v[66:67], s[36:37], v[147:148]
	v_add_f64 v[133:134], v[2:3], v[141:142]
	v_mul_f64 v[141:142], v[94:95], s[24:25]
	v_fma_f64 v[137:138], v[48:49], s[18:19], -v[145:146]
	v_add_f64 v[143:144], v[143:144], v[149:150]
	v_add_f64 v[149:150], v[0:1], v[155:156]
	v_fma_f64 v[147:148], v[66:67], s[36:37], -v[147:148]
	v_add_f64 v[153:154], v[2:3], v[153:154]
	v_add_f64 v[157:158], v[2:3], v[157:158]
	;; [unrolled: 1-line block ×3, first 2 shown]
	v_fma_f64 v[155:156], v[60:61], s[36:37], v[102:103]
	v_add_f64 v[2:3], v[2:3], v[98:99]
	v_add_f64 v[0:1], v[0:1], v[100:101]
	v_mul_f64 v[98:99], v[88:89], s[24:25]
	v_fma_f64 v[100:101], v[66:67], s[18:19], -v[96:97]
	v_mul_f64 v[94:95], v[94:95], s[52:53]
	v_add_f64 v[115:116], v[115:116], v[117:118]
	v_fma_f64 v[117:118], v[60:61], s[18:19], v[92:93]
	v_mul_f64 v[88:89], v[88:89], s[52:53]
	v_fma_f64 v[102:103], v[60:61], s[36:37], -v[102:103]
	v_fma_f64 v[66:67], v[66:67], s[18:19], v[96:97]
	v_fma_f64 v[60:61], v[60:61], s[18:19], -v[92:93]
	v_fma_f64 v[145:146], v[48:49], s[18:19], v[145:146]
	v_add_f64 v[133:134], v[135:136], v[133:134]
	v_fma_f64 v[135:136], v[64:65], s[20:21], v[141:142]
	v_add_f64 v[127:128], v[137:138], v[127:128]
	v_mul_f64 v[137:138], v[90:91], s[4:5]
	v_fma_f64 v[141:142], v[64:65], s[20:21], -v[141:142]
	v_mul_f64 v[90:91], v[90:91], s[38:39]
	v_add_f64 v[147:148], v[147:148], v[153:154]
	v_mul_f64 v[153:154], v[84:85], s[4:5]
	v_mul_f64 v[84:85], v[84:85], s[38:39]
	v_add_f64 v[151:152], v[155:156], v[151:152]
	v_add_f64 v[109:110], v[131:132], v[109:110]
	v_mul_f64 v[96:97], v[58:59], s[24:25]
	v_fma_f64 v[155:156], v[56:57], s[20:21], v[98:99]
	v_add_f64 v[2:3], v[100:101], v[2:3]
	v_fma_f64 v[100:101], v[64:65], s[22:23], -v[94:95]
	v_fma_f64 v[98:99], v[56:57], s[20:21], -v[98:99]
	v_add_f64 v[0:1], v[117:118], v[0:1]
	v_fma_f64 v[92:93], v[56:57], s[22:23], v[88:89]
	v_fma_f64 v[64:65], v[64:65], s[22:23], v[94:95]
	v_add_f64 v[66:67], v[66:67], v[157:158]
	v_fma_f64 v[56:57], v[56:57], s[22:23], -v[88:89]
	v_add_f64 v[60:61], v[60:61], v[104:105]
	v_add_f64 v[131:132], v[145:146], v[143:144]
	;; [unrolled: 1-line block ×3, first 2 shown]
	v_fma_f64 v[135:136], v[32:33], s[22:23], v[30:31]
	v_add_f64 v[30:31], v[102:103], v[149:150]
	v_fma_f64 v[117:118], v[54:55], s[0:1], v[137:138]
	v_mul_f64 v[143:144], v[86:87], s[46:47]
	v_add_f64 v[141:142], v[141:142], v[147:148]
	v_fma_f64 v[137:138], v[54:55], s[0:1], -v[137:138]
	v_fma_f64 v[147:148], v[52:53], s[0:1], v[153:154]
	v_fma_f64 v[94:95], v[54:55], s[36:37], -v[90:91]
	v_mul_f64 v[86:87], v[86:87], s[34:35]
	v_fma_f64 v[54:55], v[54:55], s[36:37], v[90:91]
	v_add_f64 v[145:146], v[155:156], v[151:152]
	v_fma_f64 v[151:152], v[52:53], s[0:1], -v[153:154]
	v_add_f64 v[2:3], v[100:101], v[2:3]
	v_mul_f64 v[100:101], v[82:83], s[46:47]
	v_mul_f64 v[82:83], v[82:83], s[34:35]
	v_add_f64 v[0:1], v[92:93], v[0:1]
	v_fma_f64 v[92:93], v[52:53], s[36:37], v[84:85]
	v_add_f64 v[64:65], v[64:65], v[66:67]
	v_fma_f64 v[52:53], v[52:53], s[36:37], -v[84:85]
	v_add_f64 v[56:57], v[56:57], v[60:61]
	v_mul_f64 v[90:91], v[78:79], s[42:43]
	v_mul_f64 v[66:67], v[76:77], s[38:39]
	;; [unrolled: 1-line block ×3, first 2 shown]
	v_add_f64 v[30:31], v[98:99], v[30:31]
	v_mul_f64 v[98:99], v[78:79], s[40:41]
	v_add_f64 v[117:118], v[117:118], v[133:134]
	v_mul_f64 v[78:79], v[78:79], s[24:25]
	v_add_f64 v[137:138], v[137:138], v[141:142]
	v_fma_f64 v[141:142], v[50:51], s[14:15], -v[143:144]
	v_fma_f64 v[143:144], v[50:51], s[14:15], v[143:144]
	v_mul_f64 v[104:105], v[58:59], s[28:29]
	v_fma_f64 v[102:103], v[34:35], s[20:21], v[129:130]
	v_add_f64 v[133:134], v[147:148], v[145:146]
	v_mul_f64 v[147:148], v[80:81], s[42:43]
	v_add_f64 v[2:3], v[94:95], v[2:3]
	v_fma_f64 v[145:146], v[48:49], s[14:15], v[100:101]
	v_fma_f64 v[94:95], v[50:51], s[30:31], -v[86:87]
	v_mul_f64 v[80:81], v[80:81], s[24:25]
	v_add_f64 v[0:1], v[92:93], v[0:1]
	v_fma_f64 v[92:93], v[48:49], s[30:31], v[82:83]
	v_fma_f64 v[100:101], v[48:49], s[14:15], -v[100:101]
	v_fma_f64 v[50:51], v[50:51], s[30:31], v[86:87]
	v_add_f64 v[54:55], v[54:55], v[64:65]
	v_fma_f64 v[48:49], v[48:49], s[30:31], -v[82:83]
	v_add_f64 v[52:53], v[52:53], v[56:57]
	v_add_f64 v[30:31], v[151:152], v[30:31]
	v_fma_f64 v[151:152], v[44:45], s[6:7], v[98:99]
	v_fma_f64 v[86:87], v[44:45], s[30:31], v[90:91]
	v_mul_f64 v[82:83], v[74:75], s[26:27]
	v_fma_f64 v[98:99], v[44:45], s[6:7], -v[98:99]
	v_add_f64 v[137:138], v[141:142], v[137:138]
	v_mul_f64 v[141:142], v[74:75], s[38:39]
	v_mul_f64 v[74:75], v[74:75], s[16:17]
	v_fma_f64 v[64:65], v[42:43], s[36:37], v[66:67]
	v_fma_f64 v[66:67], v[42:43], s[36:37], -v[66:67]
	v_add_f64 v[117:118], v[143:144], v[117:118]
	v_fma_f64 v[90:91], v[44:45], s[30:31], -v[90:91]
	v_add_f64 v[133:134], v[145:146], v[133:134]
	v_mul_f64 v[145:146], v[76:77], s[26:27]
	v_add_f64 v[2:3], v[94:95], v[2:3]
	v_fma_f64 v[94:95], v[46:47], s[30:31], -v[147:148]
	v_fma_f64 v[56:57], v[46:47], s[20:21], -v[80:81]
	v_mul_f64 v[76:77], v[76:77], s[16:17]
	v_add_f64 v[0:1], v[92:93], v[0:1]
	v_fma_f64 v[92:93], v[44:45], s[20:21], v[78:79]
	v_fma_f64 v[147:148], v[46:47], s[30:31], v[147:148]
	;; [unrolled: 1-line block ×3, first 2 shown]
	v_add_f64 v[30:31], v[100:101], v[30:31]
	v_add_f64 v[50:51], v[50:51], v[54:55]
	v_fma_f64 v[44:45], v[44:45], s[20:21], -v[78:79]
	v_add_f64 v[48:49], v[48:49], v[52:53]
	v_add_f64 v[131:132], v[151:152], v[131:132]
	v_mul_f64 v[151:152], v[62:63], s[16:17]
	v_mul_f64 v[100:101], v[62:63], s[8:9]
	v_fma_f64 v[52:53], v[40:41], s[22:23], v[82:83]
	v_mul_f64 v[62:63], v[62:63], s[4:5]
	v_mul_f64 v[78:79], v[58:59], s[4:5]
	;; [unrolled: 1-line block ×3, first 2 shown]
	v_fma_f64 v[143:144], v[40:41], s[36:37], v[141:142]
	v_add_f64 v[86:87], v[86:87], v[133:134]
	v_mul_f64 v[58:59], v[58:59], s[16:17]
	v_add_f64 v[66:67], v[66:67], v[109:110]
	v_add_f64 v[94:95], v[94:95], v[137:138]
	v_fma_f64 v[137:138], v[42:43], s[22:23], -v[145:146]
	v_add_f64 v[2:3], v[56:57], v[2:3]
	v_fma_f64 v[54:55], v[42:43], s[14:15], -v[76:77]
	v_add_f64 v[0:1], v[92:93], v[0:1]
	v_fma_f64 v[56:57], v[40:41], s[14:15], v[74:75]
	v_add_f64 v[92:93], v[98:99], v[127:128]
	v_fma_f64 v[98:99], v[40:41], s[36:37], -v[141:142]
	v_add_f64 v[109:110], v[147:148], v[117:118]
	v_fma_f64 v[117:118], v[42:43], s[22:23], v[145:146]
	v_add_f64 v[30:31], v[90:91], v[30:31]
	v_fma_f64 v[82:83], v[40:41], s[22:23], -v[82:83]
	v_fma_f64 v[42:43], v[42:43], s[14:15], v[76:77]
	v_add_f64 v[46:47], v[46:47], v[50:51]
	v_fma_f64 v[40:41], v[40:41], s[14:15], -v[74:75]
	v_add_f64 v[44:45], v[44:45], v[48:49]
	v_fma_f64 v[74:75], v[32:33], s[0:1], v[78:79]
	v_fma_f64 v[76:77], v[32:33], s[6:7], v[80:81]
	v_add_f64 v[90:91], v[143:144], v[131:132]
	v_add_f64 v[50:51], v[52:53], v[86:87]
	v_fma_f64 v[52:53], v[34:35], s[6:7], -v[100:101]
	v_fma_f64 v[127:128], v[34:35], s[14:15], -v[151:152]
	v_fma_f64 v[86:87], v[32:33], s[14:15], v[58:59]
	v_add_f64 v[48:49], v[137:138], v[94:95]
	v_fma_f64 v[84:85], v[34:35], s[18:19], v[88:89]
	v_add_f64 v[54:55], v[54:55], v[2:3]
	v_fma_f64 v[88:89], v[34:35], s[18:19], -v[88:89]
	v_add_f64 v[0:1], v[56:57], v[0:1]
	v_fma_f64 v[56:57], v[34:35], s[0:1], -v[62:63]
	v_fma_f64 v[94:95], v[32:33], s[18:19], v[104:105]
	v_fma_f64 v[149:150], v[32:33], s[20:21], -v[96:97]
	v_fma_f64 v[129:130], v[34:35], s[20:21], -v[129:130]
	v_fma_f64 v[96:97], v[32:33], s[20:21], v[96:97]
	v_fma_f64 v[60:61], v[32:33], s[18:19], -v[104:105]
	v_add_f64 v[64:65], v[64:65], v[115:116]
	v_add_f64 v[92:93], v[98:99], v[92:93]
	v_fma_f64 v[98:99], v[34:35], s[14:15], v[151:152]
	v_fma_f64 v[58:59], v[32:33], s[14:15], -v[58:59]
	v_add_f64 v[104:105], v[117:118], v[109:110]
	v_add_f64 v[82:83], v[82:83], v[30:31]
	v_fma_f64 v[100:101], v[34:35], s[6:7], v[100:101]
	v_fma_f64 v[80:81], v[32:33], s[6:7], -v[80:81]
	v_fma_f64 v[109:110], v[34:35], s[0:1], v[62:63]
	v_add_f64 v[115:116], v[42:43], v[46:47]
	v_fma_f64 v[78:79], v[32:33], s[0:1], -v[78:79]
	v_add_f64 v[117:118], v[40:41], v[44:45]
	v_add_f64 v[44:45], v[52:53], v[48:49]
	;; [unrolled: 1-line block ×23, first 2 shown]
	v_lshl_add_u32 v36, v70, 8, v106
	ds_write_b128 v36, v[4:7]
	ds_write_b128 v36, v[46:49] offset:16
	ds_write_b128 v36, v[42:45] offset:32
	;; [unrolled: 1-line block ×16, first 2 shown]
.LBB0_15:
	s_or_b32 exec_lo, exec_lo, s33
	v_and_b32_e32 v4, 0xff, v70
	v_add_nc_u32_e32 v8, 0x99, v70
	v_mov_b32_e32 v0, 0xf0f1
	v_add_nc_u32_e32 v11, 0x132, v70
	v_add_nc_u32_e32 v10, 0x1cb, v70
	v_mul_lo_u16 v1, 0xf1, v4
	s_load_dwordx2 s[2:3], s[2:3], 0x0
	v_mul_u32_u24_sdwa v2, v8, v0 dst_sel:DWORD dst_unused:UNUSED_PAD src0_sel:WORD_0 src1_sel:DWORD
	v_mul_u32_u24_sdwa v5, v11, v0 dst_sel:DWORD dst_unused:UNUSED_PAD src0_sel:WORD_0 src1_sel:DWORD
	;; [unrolled: 1-line block ×3, first 2 shown]
	v_lshrrev_b16 v3, 12, v1
	v_mov_b32_e32 v1, 5
	v_lshrrev_b32_e32 v9, 20, v2
	v_lshrrev_b32_e32 v71, 20, v5
	;; [unrolled: 1-line block ×3, first 2 shown]
	v_mul_lo_u16 v2, v3, 17
	s_waitcnt lgkmcnt(0)
	v_mul_lo_u16 v5, v9, 17
	v_mul_lo_u16 v0, v71, 17
	s_barrier
	v_sub_nc_u16 v115, v70, v2
	buffer_gl0_inv
	v_sub_nc_u16 v117, v8, v5
	v_mul_lo_u16 v5, v116, 17
	v_sub_nc_u16 v118, v11, v0
	v_lshlrev_b32_sdwa v2, v1, v115 dst_sel:DWORD dst_unused:UNUSED_PAD src0_sel:DWORD src1_sel:BYTE_0
	s_mov_b32 s4, 0xe8584caa
	v_lshlrev_b32_sdwa v0, v1, v117 dst_sel:DWORD dst_unused:UNUSED_PAD src0_sel:DWORD src1_sel:WORD_0
	s_mov_b32 s5, 0xbfebb67a
	s_mov_b32 s7, 0x3febb67a
	s_clause 0x1
	global_load_dwordx4 v[12:15], v2, s[12:13]
	global_load_dwordx4 v[16:19], v2, s[12:13] offset:16
	v_sub_nc_u16 v2, v10, v5
	v_lshlrev_b32_sdwa v5, v1, v118 dst_sel:DWORD dst_unused:UNUSED_PAD src0_sel:DWORD src1_sel:WORD_0
	s_clause 0x1
	global_load_dwordx4 v[20:23], v0, s[12:13]
	global_load_dwordx4 v[24:27], v0, s[12:13] offset:16
	s_mov_b32 s6, s4
	v_mul_lo_u16 v4, 0xa1, v4
	v_lshlrev_b32_sdwa v0, v1, v2 dst_sel:DWORD dst_unused:UNUSED_PAD src0_sel:DWORD src1_sel:WORD_0
	v_mov_b32_e32 v119, 0x330
	s_clause 0x3
	global_load_dwordx4 v[28:31], v5, s[12:13]
	global_load_dwordx4 v[32:35], v5, s[12:13] offset:16
	global_load_dwordx4 v[36:39], v0, s[12:13]
	global_load_dwordx4 v[40:43], v0, s[12:13] offset:16
	ds_read_b128 v[44:47], v106 offset:9792
	ds_read_b128 v[48:51], v106 offset:19584
	ds_read_b128 v[52:55], v106
	ds_read_b128 v[56:59], v106 offset:2448
	ds_read_b128 v[60:63], v106 offset:12240
	;; [unrolled: 1-line block ×9, first 2 shown]
	v_mov_b32_e32 v5, 0xa0a1
	v_mov_b32_e32 v0, 4
	v_lshrrev_b16 v4, 13, v4
	v_mul_u32_u24_sdwa v3, v3, v119 dst_sel:DWORD dst_unused:UNUSED_PAD src0_sel:WORD_0 src1_sel:DWORD
	v_mul_u32_u24_e32 v71, 0x330, v71
	v_mul_u32_u24_sdwa v6, v8, v5 dst_sel:DWORD dst_unused:UNUSED_PAD src0_sel:WORD_0 src1_sel:DWORD
	v_mul_u32_u24_sdwa v7, v11, v5 dst_sel:DWORD dst_unused:UNUSED_PAD src0_sel:WORD_0 src1_sel:DWORD
	;; [unrolled: 1-line block ×3, first 2 shown]
	v_lshlrev_b32_sdwa v2, v0, v2 dst_sel:DWORD dst_unused:UNUSED_PAD src0_sel:DWORD src1_sel:WORD_0
	s_waitcnt vmcnt(0) lgkmcnt(0)
	v_lshrrev_b32_e32 v5, 21, v6
	v_lshrrev_b32_e32 v6, 21, v7
	;; [unrolled: 1-line block ×3, first 2 shown]
	s_barrier
	buffer_gl0_inv
	s_add_u32 s1, s12, 0x71b0
	v_mul_f64 v[98:99], v[46:47], v[14:15]
	v_mul_f64 v[100:101], v[50:51], v[18:19]
	v_mul_f64 v[14:15], v[44:45], v[14:15]
	v_mul_f64 v[18:19], v[48:49], v[18:19]
	v_mul_f64 v[102:103], v[62:63], v[22:23]
	v_mul_f64 v[104:105], v[66:67], v[26:27]
	v_mul_f64 v[22:23], v[60:61], v[22:23]
	v_mul_f64 v[26:27], v[64:65], v[26:27]
	v_mul_f64 v[107:108], v[84:85], v[30:31]
	v_mul_f64 v[109:110], v[92:93], v[34:35]
	v_mul_f64 v[30:31], v[82:83], v[30:31]
	v_mul_f64 v[34:35], v[90:91], v[34:35]
	v_mul_f64 v[111:112], v[88:89], v[38:39]
	v_mul_f64 v[113:114], v[96:97], v[42:43]
	v_mul_f64 v[38:39], v[86:87], v[38:39]
	v_mul_f64 v[42:43], v[94:95], v[42:43]
	v_fma_f64 v[44:45], v[44:45], v[12:13], v[98:99]
	v_fma_f64 v[48:49], v[48:49], v[16:17], v[100:101]
	v_fma_f64 v[13:14], v[46:47], v[12:13], -v[14:15]
	v_fma_f64 v[15:16], v[50:51], v[16:17], -v[18:19]
	v_fma_f64 v[17:18], v[60:61], v[20:21], v[102:103]
	v_fma_f64 v[46:47], v[64:65], v[24:25], v[104:105]
	v_fma_f64 v[19:20], v[62:63], v[20:21], -v[22:23]
	v_fma_f64 v[21:22], v[66:67], v[24:25], -v[26:27]
	;; [unrolled: 4-line block ×4, first 2 shown]
	v_mul_u32_u24_e32 v102, 0x330, v9
	v_mul_lo_u16 v9, v4, 51
	v_lshlrev_b32_sdwa v105, v0, v115 dst_sel:DWORD dst_unused:UNUSED_PAD src0_sel:DWORD src1_sel:BYTE_0
	v_mul_lo_u16 v12, v5, 51
	v_lshlrev_b32_sdwa v107, v0, v117 dst_sel:DWORD dst_unused:UNUSED_PAD src0_sel:DWORD src1_sel:WORD_0
	v_mul_u32_u24_e32 v103, 0x330, v116
	v_add_f64 v[64:65], v[52:53], v[44:45]
	v_add_f64 v[39:40], v[44:45], v[48:49]
	;; [unrolled: 1-line block ×4, first 2 shown]
	v_add_f64 v[82:83], v[13:14], -v[15:16]
	v_add_f64 v[50:51], v[17:18], v[46:47]
	v_add_f64 v[43:44], v[44:45], -v[48:49]
	v_add_f64 v[60:61], v[19:20], v[21:22]
	v_add_f64 v[92:93], v[58:59], v[19:20]
	;; [unrolled: 1-line block ×11, first 2 shown]
	v_sub_nc_u16 v9, v70, v9
	v_lshlrev_b32_sdwa v108, v0, v118 dst_sel:DWORD dst_unused:UNUSED_PAD src0_sel:DWORD src1_sel:WORD_0
	v_add3_u32 v3, 0, v3, v105
	v_mul_lo_u16 v104, v6, 51
	v_add_f64 v[13:14], v[64:65], v[48:49]
	v_fma_f64 v[39:40], v[39:40], -0.5, v[52:53]
	v_add_f64 v[52:53], v[19:20], -v[21:22]
	v_fma_f64 v[41:42], v[41:42], -0.5, v[54:55]
	v_add_f64 v[54:55], v[17:18], -v[46:47]
	;; [unrolled: 2-line block ×6, first 2 shown]
	v_fma_f64 v[78:79], v[84:85], -0.5, v[78:79]
	v_add_f64 v[15:16], v[86:87], v[15:16]
	v_fma_f64 v[64:65], v[88:89], -0.5, v[80:81]
	v_add_f64 v[23:24], v[96:97], v[29:30]
	v_add_f64 v[19:20], v[92:93], v[21:22]
	;; [unrolled: 1-line block ×6, first 2 shown]
	v_sub_nc_u16 v12, v8, v12
	v_fma_f64 v[29:30], v[82:83], s[4:5], v[39:40]
	v_fma_f64 v[33:34], v[82:83], s[6:7], v[39:40]
	;; [unrolled: 1-line block ×16, first 2 shown]
	v_add3_u32 v63, 0, v102, v107
	v_add3_u32 v2, 0, v103, v2
	v_lshlrev_b32_sdwa v61, v1, v9 dst_sel:DWORD dst_unused:UNUSED_PAD src0_sel:DWORD src1_sel:BYTE_0
	v_add3_u32 v64, 0, v71, v108
	v_lshlrev_b32_sdwa v62, v1, v12 dst_sel:DWORD dst_unused:UNUSED_PAD src0_sel:DWORD src1_sel:WORD_0
	ds_write_b128 v3, v[13:16]
	ds_write_b128 v3, v[29:32] offset:272
	ds_write_b128 v3, v[33:36] offset:544
	ds_write_b128 v63, v[17:20]
	ds_write_b128 v63, v[37:40] offset:272
	ds_write_b128 v63, v[41:44] offset:544
	;; [unrolled: 3-line block ×4, first 2 shown]
	v_mul_lo_u16 v2, v7, 51
	v_sub_nc_u16 v59, v11, v104
	s_waitcnt lgkmcnt(0)
	s_barrier
	buffer_gl0_inv
	s_clause 0x1
	global_load_dwordx4 v[15:18], v61, s[12:13] offset:560
	global_load_dwordx4 v[19:22], v61, s[12:13] offset:544
	v_sub_nc_u16 v63, v10, v2
	s_clause 0x1
	global_load_dwordx4 v[23:26], v62, s[12:13] offset:544
	global_load_dwordx4 v[27:30], v62, s[12:13] offset:560
	v_lshlrev_b32_sdwa v2, v1, v59 dst_sel:DWORD dst_unused:UNUSED_PAD src0_sel:DWORD src1_sel:WORD_0
	v_add_nc_u32_e32 v14, 0x264, v70
	v_add_nc_u32_e32 v13, 0x2fd, v70
	v_lshlrev_b32_sdwa v1, v1, v63 dst_sel:DWORD dst_unused:UNUSED_PAD src0_sel:DWORD src1_sel:WORD_0
	s_clause 0x3
	global_load_dwordx4 v[31:34], v2, s[12:13] offset:544
	global_load_dwordx4 v[35:38], v2, s[12:13] offset:560
	;; [unrolled: 1-line block ×4, first 2 shown]
	v_mov_b32_e32 v1, 0x358b
	v_mov_b32_e32 v71, 0
	;; [unrolled: 1-line block ×3, first 2 shown]
	v_mul_u32_u24_e32 v82, 0x990, v6
	v_mul_u32_u24_e32 v86, 0x990, v7
	v_mul_u32_u24_sdwa v50, v14, v1 dst_sel:DWORD dst_unused:UNUSED_PAD src0_sel:WORD_0 src1_sel:DWORD
	v_mul_u32_u24_sdwa v48, v11, v1 dst_sel:DWORD dst_unused:UNUSED_PAD src0_sel:WORD_0 src1_sel:DWORD
	;; [unrolled: 1-line block ×4, first 2 shown]
	v_lshlrev_b64 v[2:3], 4, v[70:71]
	v_lshrrev_b32_e32 v50, 21, v50
	v_lshrrev_b32_e32 v48, 21, v48
	;; [unrolled: 1-line block ×4, first 2 shown]
	v_mul_u32_u24_sdwa v67, v4, v47 dst_sel:DWORD dst_unused:UNUSED_PAD src0_sel:WORD_0 src1_sel:DWORD
	v_add_co_u32 v51, s0, s12, v2
	v_add_co_ci_u32_e64 v52, s0, s13, v3, s0
	v_mul_lo_u16 v47, 0x99, v50
	v_mul_u32_u24_e32 v71, 0x990, v5
	v_mul_lo_u16 v4, 0x99, v48
	v_mul_lo_u16 v5, 0x99, v49
	;; [unrolled: 1-line block ×3, first 2 shown]
	v_add_co_u32 v6, s0, 0x800, v51
	v_add_co_ci_u32_e64 v7, s0, 0, v52, s0
	v_sub_nc_u16 v64, v14, v47
	ds_read_b128 v[47:50], v106 offset:9792
	ds_read_b128 v[55:58], v106 offset:12240
	;; [unrolled: 1-line block ×3, first 2 shown]
	v_sub_nc_u16 v4, v11, v4
	v_sub_nc_u16 v5, v10, v5
	;; [unrolled: 1-line block ×3, first 2 shown]
	v_lshlrev_b32_sdwa v83, v0, v59 dst_sel:DWORD dst_unused:UNUSED_PAD src0_sel:DWORD src1_sel:WORD_0
	ds_read_b128 v[59:62], v106 offset:22032
	v_lshlrev_b32_sdwa v9, v0, v9 dst_sel:DWORD dst_unused:UNUSED_PAD src0_sel:DWORD src1_sel:BYTE_0
	v_lshlrev_b32_sdwa v12, v0, v12 dst_sel:DWORD dst_unused:UNUSED_PAD src0_sel:DWORD src1_sel:WORD_0
	v_lshlrev_b32_sdwa v87, v0, v63 dst_sel:DWORD dst_unused:UNUSED_PAD src0_sel:DWORD src1_sel:WORD_0
	;; [unrolled: 1-line block ×6, first 2 shown]
	ds_read_b128 v[63:66], v106 offset:14688
	ds_read_b128 v[78:81], v106 offset:17136
	;; [unrolled: 1-line block ×3, first 2 shown]
	v_add3_u32 v9, 0, v67, v9
	v_add3_u32 v67, 0, v82, v83
	ds_read_b128 v[82:85], v106 offset:26928
	v_add3_u32 v12, 0, v71, v12
	v_add3_u32 v71, 0, v86, v87
	v_add_co_u32 v102, s0, s12, v1
	v_add_co_ci_u32_e64 v103, null, s13, 0, s0
	v_add_co_u32 v111, s0, s12, v4
	v_add_co_ci_u32_e64 v112, null, s13, 0, s0
	v_add_co_u32 v113, s0, s12, v5
	v_add_co_ci_u32_e64 v114, null, s13, 0, s0
	v_add_co_u32 v115, s0, s12, v0
	v_add_co_ci_u32_e64 v116, null, s13, 0, s0
	v_add_nc_u32_e32 v1, 0, v1
	v_add_nc_u32_e32 v4, 0, v4
	;; [unrolled: 1-line block ×4, first 2 shown]
	s_waitcnt vmcnt(7) lgkmcnt(5)
	v_mul_f64 v[88:89], v[53:54], v[17:18]
	s_waitcnt vmcnt(6)
	v_mul_f64 v[86:87], v[49:50], v[21:22]
	v_mul_f64 v[21:22], v[47:48], v[21:22]
	;; [unrolled: 1-line block ×3, first 2 shown]
	s_waitcnt vmcnt(5)
	v_mul_f64 v[90:91], v[57:58], v[25:26]
	v_mul_f64 v[25:26], v[55:56], v[25:26]
	s_waitcnt vmcnt(4) lgkmcnt(4)
	v_mul_f64 v[92:93], v[61:62], v[29:30]
	v_mul_f64 v[29:30], v[59:60], v[29:30]
	s_waitcnt vmcnt(3) lgkmcnt(3)
	;; [unrolled: 3-line block ×3, first 2 shown]
	v_mul_f64 v[96:97], v[76:77], v[37:38]
	v_mul_f64 v[37:38], v[74:75], v[37:38]
	s_waitcnt vmcnt(1)
	v_mul_f64 v[98:99], v[80:81], v[41:42]
	v_mul_f64 v[41:42], v[78:79], v[41:42]
	s_waitcnt vmcnt(0) lgkmcnt(0)
	v_mul_f64 v[100:101], v[84:85], v[45:46]
	v_mul_f64 v[45:46], v[82:83], v[45:46]
	v_fma_f64 v[51:52], v[51:52], v[15:16], v[88:89]
	v_fma_f64 v[47:48], v[47:48], v[19:20], v[86:87]
	v_fma_f64 v[49:50], v[49:50], v[19:20], -v[21:22]
	v_fma_f64 v[53:54], v[53:54], v[15:16], -v[17:18]
	v_fma_f64 v[55:56], v[55:56], v[23:24], v[90:91]
	v_fma_f64 v[57:58], v[57:58], v[23:24], -v[25:26]
	v_fma_f64 v[59:60], v[59:60], v[27:28], v[92:93]
	v_fma_f64 v[61:62], v[61:62], v[27:28], -v[29:30]
	v_fma_f64 v[63:64], v[63:64], v[31:32], v[94:95]
	v_fma_f64 v[31:32], v[65:66], v[31:32], -v[33:34]
	v_fma_f64 v[33:34], v[74:75], v[35:36], v[96:97]
	v_fma_f64 v[35:36], v[76:77], v[35:36], -v[37:38]
	v_fma_f64 v[37:38], v[78:79], v[39:40], v[98:99]
	v_fma_f64 v[39:40], v[80:81], v[39:40], -v[41:42]
	v_fma_f64 v[65:66], v[82:83], v[43:44], v[100:101]
	v_fma_f64 v[41:42], v[84:85], v[43:44], -v[45:46]
	ds_read_b128 v[15:18], v106
	ds_read_b128 v[19:22], v106 offset:2448
	ds_read_b128 v[23:26], v106 offset:4896
	;; [unrolled: 1-line block ×3, first 2 shown]
	v_add_co_u32 v78, s0, 0x800, v102
	v_add_co_ci_u32_e64 v79, s0, 0, v103, s0
	v_add_f64 v[43:44], v[47:48], v[51:52]
	s_waitcnt lgkmcnt(0)
	v_add_f64 v[45:46], v[49:50], v[53:54]
	v_add_f64 v[86:87], v[49:50], -v[53:54]
	s_barrier
	v_add_f64 v[74:75], v[55:56], v[59:60]
	v_add_f64 v[76:77], v[57:58], v[61:62]
	buffer_gl0_inv
	v_add_f64 v[80:81], v[63:64], v[33:34]
	v_add_f64 v[84:85], v[31:32], v[35:36]
	v_add_f64 v[104:105], v[31:32], -v[35:36]
	v_add_f64 v[82:83], v[15:16], v[47:48]
	v_add_f64 v[88:89], v[37:38], v[65:66]
	;; [unrolled: 1-line block ×4, first 2 shown]
	v_add_f64 v[47:48], v[47:48], -v[51:52]
	v_add_f64 v[96:97], v[23:24], v[63:64]
	v_add_f64 v[98:99], v[25:26], v[31:32]
	;; [unrolled: 1-line block ×4, first 2 shown]
	v_fma_f64 v[43:44], v[43:44], -0.5, v[15:16]
	v_add_f64 v[102:103], v[29:30], v[39:40]
	v_fma_f64 v[45:46], v[45:46], -0.5, v[17:18]
	v_add_f64 v[57:58], v[57:58], -v[61:62]
	v_add_f64 v[55:56], v[55:56], -v[59:60]
	v_fma_f64 v[74:75], v[74:75], -0.5, v[19:20]
	v_fma_f64 v[76:77], v[76:77], -0.5, v[21:22]
	v_add_f64 v[63:64], v[63:64], -v[33:34]
	v_add_f64 v[100:101], v[27:28], v[37:38]
	v_fma_f64 v[80:81], v[80:81], -0.5, v[23:24]
	v_fma_f64 v[84:85], v[84:85], -0.5, v[25:26]
	v_add_f64 v[107:108], v[39:40], -v[41:42]
	v_add_f64 v[109:110], v[37:38], -v[65:66]
	v_add_f64 v[15:16], v[82:83], v[51:52]
	v_fma_f64 v[88:89], v[88:89], -0.5, v[27:28]
	v_fma_f64 v[82:83], v[90:91], -0.5, v[29:30]
	v_add_f64 v[17:18], v[49:50], v[53:54]
	v_add_f64 v[23:24], v[96:97], v[33:34]
	v_add_f64 v[25:26], v[98:99], v[35:36]
	v_add_f64 v[19:20], v[92:93], v[59:60]
	v_add_f64 v[21:22], v[94:95], v[61:62]
	v_fma_f64 v[31:32], v[86:87], s[4:5], v[43:44]
	v_fma_f64 v[35:36], v[86:87], s[6:7], v[43:44]
	;; [unrolled: 1-line block ×4, first 2 shown]
	v_add_f64 v[29:30], v[102:103], v[41:42]
	v_fma_f64 v[39:40], v[57:58], s[4:5], v[74:75]
	v_fma_f64 v[41:42], v[55:56], s[6:7], v[76:77]
	;; [unrolled: 1-line block ×8, first 2 shown]
	v_add_f64 v[27:28], v[100:101], v[65:66]
	v_fma_f64 v[55:56], v[107:108], s[4:5], v[88:89]
	v_fma_f64 v[57:58], v[109:110], s[6:7], v[82:83]
	;; [unrolled: 1-line block ×4, first 2 shown]
	v_add_co_u32 v63, s0, 0x800, v111
	v_add_co_ci_u32_e64 v64, s0, 0, v112, s0
	v_add_co_u32 v65, s0, 0x800, v113
	v_add_co_ci_u32_e64 v66, s0, 0, v114, s0
	ds_write_b128 v9, v[15:18]
	ds_write_b128 v9, v[31:34] offset:816
	ds_write_b128 v9, v[35:38] offset:1632
	ds_write_b128 v12, v[19:22]
	ds_write_b128 v12, v[39:42] offset:816
	ds_write_b128 v12, v[43:46] offset:1632
	;; [unrolled: 3-line block ×4, first 2 shown]
	s_waitcnt lgkmcnt(0)
	s_barrier
	buffer_gl0_inv
	s_clause 0x1
	global_load_dwordx4 v[15:18], v[6:7], off offset:128
	global_load_dwordx4 v[19:22], v[78:79], off offset:128
	v_add_co_u32 v6, s0, 0x800, v115
	v_add_co_ci_u32_e64 v7, s0, 0, v116, s0
	s_clause 0x2
	global_load_dwordx4 v[23:26], v[63:64], off offset:128
	global_load_dwordx4 v[27:30], v[65:66], off offset:128
	;; [unrolled: 1-line block ×3, first 2 shown]
	ds_read_b128 v[35:38], v106 offset:14688
	ds_read_b128 v[39:42], v106 offset:17136
	;; [unrolled: 1-line block ×6, first 2 shown]
	ds_read_b128 v[59:62], v106
	ds_read_b128 v[63:66], v106 offset:2448
	ds_read_b128 v[74:77], v106 offset:4896
	ds_read_b128 v[78:81], v106 offset:7344
	v_mul_u32_u24_e32 v9, 5, v70
	v_lshlrev_b32_e32 v9, 4, v9
	v_add_co_u32 v9, s0, s12, v9
	v_add_co_ci_u32_e64 v12, null, s13, 0, s0
	s_waitcnt vmcnt(4) lgkmcnt(9)
	v_mul_f64 v[6:7], v[37:38], v[17:18]
	v_mul_f64 v[82:83], v[35:36], v[17:18]
	s_waitcnt lgkmcnt(8)
	v_mul_f64 v[84:85], v[41:42], v[17:18]
	v_mul_f64 v[17:18], v[39:40], v[17:18]
	s_waitcnt vmcnt(3) lgkmcnt(7)
	v_mul_f64 v[86:87], v[45:46], v[21:22]
	v_mul_f64 v[21:22], v[43:44], v[21:22]
	s_waitcnt vmcnt(2) lgkmcnt(6)
	;; [unrolled: 3-line block ×4, first 2 shown]
	v_mul_f64 v[92:93], v[57:58], v[33:34]
	v_mul_f64 v[33:34], v[55:56], v[33:34]
	v_fma_f64 v[6:7], v[35:36], v[15:16], v[6:7]
	v_fma_f64 v[35:36], v[37:38], v[15:16], -v[82:83]
	v_fma_f64 v[37:38], v[39:40], v[15:16], v[84:85]
	v_fma_f64 v[39:40], v[41:42], v[15:16], -v[17:18]
	;; [unrolled: 2-line block ×5, first 2 shown]
	v_fma_f64 v[53:54], v[55:56], v[31:32], v[92:93]
	ds_read_b128 v[15:18], v106 offset:9792
	ds_read_b128 v[19:22], v106 offset:12240
	v_fma_f64 v[55:56], v[57:58], v[31:32], -v[33:34]
	v_add_co_u32 v82, s0, 0x1210, v9
	v_add_co_ci_u32_e64 v83, s0, 0, v12, s0
	v_add_co_u32 v84, s0, 0x1000, v9
	v_add_co_ci_u32_e64 v85, s0, 0, v12, s0
	s_waitcnt lgkmcnt(5)
	v_add_f64 v[23:24], v[59:60], -v[6:7]
	v_add_f64 v[25:26], v[61:62], -v[35:36]
	s_waitcnt lgkmcnt(4)
	v_add_f64 v[27:28], v[63:64], -v[37:38]
	v_add_f64 v[29:30], v[65:66], -v[39:40]
	;; [unrolled: 3-line block ×5, first 2 shown]
	v_add_f64 v[43:44], v[19:20], -v[53:54]
	s_barrier
	v_add_f64 v[45:46], v[21:22], -v[55:56]
	buffer_gl0_inv
	v_fma_f64 v[47:48], v[59:60], 2.0, -v[23:24]
	v_fma_f64 v[49:50], v[61:62], 2.0, -v[25:26]
	;; [unrolled: 1-line block ×8, first 2 shown]
	v_add_co_u32 v63, s0, 0x41e0, v9
	v_fma_f64 v[15:16], v[15:16], 2.0, -v[39:40]
	v_fma_f64 v[17:18], v[17:18], 2.0, -v[41:42]
	;; [unrolled: 1-line block ×4, first 2 shown]
	ds_write_b128 v106, v[23:26] offset:2448
	ds_write_b128 v106, v[27:30] offset:7344
	ds_write_b128 v106, v[47:50]
	ds_write_b128 v106, v[51:54] offset:4896
	ds_write_b128 v1, v[55:58] offset:9792
	;; [unrolled: 1-line block ×9, first 2 shown]
	s_waitcnt lgkmcnt(0)
	s_barrier
	buffer_gl0_inv
	s_clause 0x1
	global_load_dwordx4 v[4:7], v[82:83], off offset:32
	global_load_dwordx4 v[15:18], v[84:85], off offset:592
	v_add_co_ci_u32_e64 v64, s0, 0, v12, s0
	v_add_co_u32 v0, s0, 0x4000, v9
	v_add_co_ci_u32_e64 v1, s0, 0, v12, s0
	s_clause 0x7
	global_load_dwordx4 v[19:22], v[63:64], off offset:32
	global_load_dwordx4 v[23:26], v[0:1], off offset:544
	;; [unrolled: 1-line block ×8, first 2 shown]
	ds_read_b128 v[51:54], v106 offset:14688
	ds_read_b128 v[55:58], v106 offset:24480
	;; [unrolled: 1-line block ×8, first 2 shown]
	s_waitcnt vmcnt(9) lgkmcnt(7)
	v_mul_f64 v[0:1], v[51:52], v[6:7]
	s_waitcnt vmcnt(8) lgkmcnt(6)
	v_mul_f64 v[90:91], v[55:56], v[17:18]
	v_mul_f64 v[6:7], v[53:54], v[6:7]
	s_waitcnt vmcnt(7) lgkmcnt(5)
	v_mul_f64 v[98:99], v[59:60], v[21:22]
	s_waitcnt vmcnt(6) lgkmcnt(4)
	;; [unrolled: 2-line block ×3, first 2 shown]
	v_mul_f64 v[102:103], v[74:75], v[29:30]
	v_mul_f64 v[17:18], v[57:58], v[17:18]
	v_mul_f64 v[21:22], v[61:62], v[21:22]
	v_mul_f64 v[25:26], v[65:66], v[25:26]
	v_mul_f64 v[29:30], v[76:77], v[29:30]
	v_fma_f64 v[0:1], v[53:54], v[4:5], -v[0:1]
	v_fma_f64 v[53:54], v[57:58], v[15:16], -v[90:91]
	s_waitcnt vmcnt(4) lgkmcnt(2)
	v_mul_f64 v[57:58], v[78:79], v[33:34]
	v_fma_f64 v[61:62], v[61:62], v[19:20], -v[98:99]
	v_fma_f64 v[65:66], v[65:66], v[23:24], -v[100:101]
	ds_read_b128 v[90:93], v106 offset:12240
	ds_read_b128 v[94:97], v106 offset:22032
	s_waitcnt vmcnt(3) lgkmcnt(3)
	v_mul_f64 v[98:99], v[84:85], v[37:38]
	v_mul_f64 v[37:38], v[82:83], v[37:38]
	s_waitcnt vmcnt(2) lgkmcnt(2)
	v_mul_f64 v[100:101], v[88:89], v[41:42]
	v_mul_f64 v[41:42], v[86:87], v[41:42]
	v_fma_f64 v[51:52], v[51:52], v[4:5], v[6:7]
	v_fma_f64 v[55:56], v[55:56], v[15:16], v[17:18]
	v_fma_f64 v[76:77], v[76:77], v[27:28], -v[102:103]
	v_mul_f64 v[33:34], v[80:81], v[33:34]
	v_fma_f64 v[19:20], v[59:60], v[19:20], v[21:22]
	v_fma_f64 v[21:22], v[63:64], v[23:24], v[25:26]
	;; [unrolled: 1-line block ×3, first 2 shown]
	ds_read_b128 v[4:7], v106
	v_add_f64 v[15:16], v[0:1], v[53:54]
	s_waitcnt vmcnt(1) lgkmcnt(2)
	v_mul_f64 v[17:18], v[92:93], v[45:46]
	v_mul_f64 v[45:46], v[90:91], v[45:46]
	s_waitcnt vmcnt(0) lgkmcnt(1)
	v_mul_f64 v[102:103], v[96:97], v[49:50]
	v_mul_f64 v[49:50], v[94:95], v[49:50]
	v_fma_f64 v[23:24], v[80:81], v[31:32], -v[57:58]
	v_add_f64 v[25:26], v[61:62], v[65:66]
	v_fma_f64 v[57:58], v[82:83], v[35:36], v[98:99]
	v_fma_f64 v[35:36], v[84:85], v[35:36], -v[37:38]
	v_fma_f64 v[37:38], v[86:87], v[39:40], v[100:101]
	v_fma_f64 v[39:40], v[88:89], v[39:40], -v[41:42]
	v_add_f64 v[29:30], v[51:52], v[55:56]
	v_add_f64 v[41:42], v[51:52], -v[55:56]
	v_fma_f64 v[31:32], v[78:79], v[31:32], v[33:34]
	v_add_f64 v[33:34], v[19:20], v[21:22]
	v_add_f64 v[84:85], v[0:1], -v[53:54]
	v_add_f64 v[88:89], v[61:62], -v[65:66]
	v_add_f64 v[0:1], v[76:77], v[0:1]
	v_fma_f64 v[59:60], v[15:16], -0.5, v[76:77]
	v_fma_f64 v[63:64], v[90:91], v[43:44], v[17:18]
	ds_read_b128 v[15:18], v106 offset:2448
	v_fma_f64 v[43:44], v[92:93], v[43:44], -v[45:46]
	v_fma_f64 v[45:46], v[94:95], v[47:48], v[102:103]
	v_fma_f64 v[47:48], v[96:97], v[47:48], -v[49:50]
	v_add_f64 v[49:50], v[19:20], -v[21:22]
	v_fma_f64 v[25:26], v[25:26], -0.5, v[23:24]
	s_waitcnt lgkmcnt(1)
	v_add_f64 v[74:75], v[4:5], v[57:58]
	v_add_f64 v[78:79], v[57:58], v[37:38]
	v_add_f64 v[80:81], v[35:36], -v[39:40]
	v_add_f64 v[82:83], v[6:7], v[35:36]
	v_add_f64 v[35:36], v[35:36], v[39:40]
	v_fma_f64 v[29:30], v[29:30], -0.5, v[27:28]
	v_add_f64 v[27:28], v[27:28], v[51:52]
	v_fma_f64 v[33:34], v[33:34], -0.5, v[31:32]
	v_add_f64 v[19:20], v[31:32], v[19:20]
	v_add_f64 v[23:24], v[23:24], v[61:62]
	v_add_f64 v[57:58], v[57:58], -v[37:38]
	v_add_f64 v[0:1], v[0:1], v[53:54]
	s_waitcnt lgkmcnt(0)
	s_barrier
	v_fma_f64 v[86:87], v[41:42], s[6:7], v[59:60]
	v_fma_f64 v[41:42], v[41:42], s[4:5], v[59:60]
	buffer_gl0_inv
	v_add_f64 v[51:52], v[63:64], v[45:46]
	v_add_f64 v[59:60], v[43:44], v[47:48]
	v_add_f64 v[90:91], v[43:44], -v[47:48]
	v_fma_f64 v[76:77], v[49:50], s[6:7], v[25:26]
	v_fma_f64 v[25:26], v[49:50], s[4:5], v[25:26]
	v_add_f64 v[49:50], v[15:16], v[63:64]
	v_add_f64 v[43:44], v[17:18], v[43:44]
	;; [unrolled: 1-line block ×3, first 2 shown]
	v_fma_f64 v[4:5], v[78:79], -0.5, v[4:5]
	v_add_f64 v[37:38], v[82:83], v[39:40]
	v_fma_f64 v[6:7], v[35:36], -0.5, v[6:7]
	v_fma_f64 v[35:36], v[84:85], s[4:5], v[29:30]
	v_fma_f64 v[29:30], v[84:85], s[6:7], v[29:30]
	v_add_f64 v[63:64], v[63:64], -v[45:46]
	v_add_f64 v[27:28], v[27:28], v[55:56]
	v_mul_f64 v[39:40], v[86:87], s[4:5]
	v_mul_f64 v[74:75], v[86:87], 0.5
	v_mul_f64 v[61:62], v[41:42], s[4:5]
	v_mul_f64 v[41:42], v[41:42], -0.5
	v_fma_f64 v[15:16], v[51:52], -0.5, v[15:16]
	v_fma_f64 v[17:18], v[59:60], -0.5, v[17:18]
	v_fma_f64 v[51:52], v[88:89], s[4:5], v[33:34]
	v_mul_f64 v[59:60], v[76:77], s[4:5]
	v_mul_f64 v[76:77], v[76:77], 0.5
	v_fma_f64 v[33:34], v[88:89], s[6:7], v[33:34]
	v_mul_f64 v[78:79], v[25:26], s[4:5]
	v_mul_f64 v[25:26], v[25:26], -0.5
	v_add_f64 v[45:46], v[49:50], v[45:46]
	v_add_f64 v[43:44], v[43:44], v[47:48]
	;; [unrolled: 1-line block ×4, first 2 shown]
	v_fma_f64 v[53:54], v[80:81], s[4:5], v[4:5]
	v_fma_f64 v[65:66], v[57:58], s[6:7], v[6:7]
	v_fma_f64 v[55:56], v[80:81], s[6:7], v[4:5]
	v_fma_f64 v[57:58], v[57:58], s[4:5], v[6:7]
	v_add_f64 v[4:5], v[31:32], v[27:28]
	v_add_f64 v[6:7], v[37:38], v[0:1]
	v_fma_f64 v[39:40], v[35:36], 0.5, v[39:40]
	v_fma_f64 v[74:75], v[35:36], s[6:7], v[74:75]
	v_fma_f64 v[61:62], v[29:30], -0.5, v[61:62]
	v_fma_f64 v[41:42], v[29:30], s[6:7], v[41:42]
	v_fma_f64 v[80:81], v[90:91], s[4:5], v[15:16]
	;; [unrolled: 1-line block ×4, first 2 shown]
	v_fma_f64 v[59:60], v[51:52], 0.5, v[59:60]
	v_fma_f64 v[76:77], v[51:52], s[6:7], v[76:77]
	v_fma_f64 v[63:64], v[63:64], s[4:5], v[17:18]
	v_fma_f64 v[78:79], v[33:34], -0.5, v[78:79]
	v_fma_f64 v[86:87], v[33:34], s[6:7], v[25:26]
	v_add_f64 v[15:16], v[31:32], -v[27:28]
	v_add_f64 v[17:18], v[37:38], -v[0:1]
	v_add_f64 v[19:20], v[45:46], v[47:48]
	v_add_f64 v[21:22], v[43:44], v[49:50]
	v_add_f64 v[23:24], v[45:46], -v[47:48]
	v_add_f64 v[25:26], v[43:44], -v[49:50]
	v_lshlrev_b32_e32 v0, 4, v70
	s_addc_u32 s4, s13, 0
	s_mov_b32 s5, exec_lo
	v_add_f64 v[27:28], v[53:54], v[39:40]
	v_add_f64 v[29:30], v[65:66], v[74:75]
	;; [unrolled: 1-line block ×4, first 2 shown]
	v_add_f64 v[35:36], v[53:54], -v[39:40]
	v_add_f64 v[37:38], v[65:66], -v[74:75]
	v_add_f64 v[39:40], v[55:56], -v[61:62]
	v_add_f64 v[41:42], v[57:58], -v[41:42]
	v_add_f64 v[43:44], v[80:81], v[59:60]
	v_add_f64 v[45:46], v[84:85], v[76:77]
	;; [unrolled: 1-line block ×4, first 2 shown]
	v_add_f64 v[51:52], v[80:81], -v[59:60]
	v_add_f64 v[53:54], v[84:85], -v[76:77]
	;; [unrolled: 1-line block ×4, first 2 shown]
	ds_write_b128 v106, v[4:7]
	ds_write_b128 v106, v[15:18] offset:14688
	ds_write_b128 v106, v[19:22] offset:2448
	;; [unrolled: 1-line block ×11, first 2 shown]
	s_waitcnt lgkmcnt(0)
	s_barrier
	buffer_gl0_inv
	ds_read_b128 v[4:7], v106
	v_sub_nc_u32_e32 v19, 0, v0
                                        ; implicit-def: $vgpr0_vgpr1
                                        ; implicit-def: $vgpr15_vgpr16
                                        ; implicit-def: $vgpr17_vgpr18
	v_cmpx_ne_u32_e32 0, v70
	s_xor_b32 s5, exec_lo, s5
	s_cbranch_execz .LBB0_17
; %bb.16:
	v_add_co_u32 v0, s0, s1, v2
	v_add_co_ci_u32_e64 v1, s0, s4, v3, s0
	global_load_dwordx4 v[20:23], v[0:1], off
	ds_read_b128 v[0:3], v19 offset:29376
	s_waitcnt lgkmcnt(0)
	v_add_f64 v[15:16], v[4:5], -v[0:1]
	v_add_f64 v[17:18], v[6:7], v[2:3]
	v_add_f64 v[2:3], v[6:7], -v[2:3]
	v_add_f64 v[0:1], v[4:5], v[0:1]
	v_mul_f64 v[6:7], v[15:16], 0.5
	v_mul_f64 v[4:5], v[17:18], 0.5
	;; [unrolled: 1-line block ×3, first 2 shown]
	s_waitcnt vmcnt(0)
	v_mul_f64 v[15:16], v[6:7], v[22:23]
	v_fma_f64 v[17:18], v[4:5], v[22:23], v[2:3]
	v_fma_f64 v[2:3], v[4:5], v[22:23], -v[2:3]
	v_fma_f64 v[24:25], v[0:1], 0.5, v[15:16]
	v_fma_f64 v[0:1], v[0:1], 0.5, -v[15:16]
	v_fma_f64 v[17:18], -v[20:21], v[6:7], v[17:18]
	v_fma_f64 v[2:3], -v[20:21], v[6:7], v[2:3]
	v_fma_f64 v[15:16], v[4:5], v[20:21], v[24:25]
	v_fma_f64 v[0:1], -v[4:5], v[20:21], v[0:1]
                                        ; implicit-def: $vgpr4_vgpr5
.LBB0_17:
	s_andn2_saveexec_b32 s0, s5
	s_cbranch_execz .LBB0_19
; %bb.18:
	v_mov_b32_e32 v9, 0
	s_waitcnt lgkmcnt(0)
	v_add_f64 v[15:16], v[4:5], v[6:7]
	v_add_f64 v[0:1], v[4:5], -v[6:7]
	v_mov_b32_e32 v17, 0
	v_mov_b32_e32 v18, 0
	ds_read_b64 v[20:21], v9 offset:14696
	v_mov_b32_e32 v2, v17
	v_mov_b32_e32 v3, v18
	s_waitcnt lgkmcnt(0)
	v_xor_b32_e32 v21, 0x80000000, v21
	ds_write_b64 v9, v[20:21] offset:14696
.LBB0_19:
	s_or_b32 exec_lo, exec_lo, s0
	v_mov_b32_e32 v9, 0
	ds_write2_b64 v106, v[15:16], v[17:18] offset1:1
	ds_write_b128 v19, v[0:3] offset:29376
	s_waitcnt lgkmcnt(2)
	v_lshlrev_b64 v[4:5], 4, v[8:9]
	v_mov_b32_e32 v12, v9
	v_add_nc_u32_e32 v8, 0x1000, v106
	v_lshlrev_b64 v[11:12], 4, v[11:12]
	v_add_co_u32 v4, s0, s1, v4
	v_add_co_ci_u32_e64 v5, s0, s4, v5, s0
	v_add_co_u32 v11, s0, s1, v11
	global_load_dwordx4 v[4:7], v[4:5], off
	v_add_co_ci_u32_e64 v12, s0, s4, v12, s0
	global_load_dwordx4 v[20:23], v[11:12], off
	v_mov_b32_e32 v11, v9
	ds_read_b128 v[0:3], v106 offset:2448
	ds_read_b128 v[15:18], v19 offset:26928
	v_lshlrev_b64 v[10:11], 4, v[10:11]
	v_add_co_u32 v10, s0, s1, v10
	v_add_co_ci_u32_e64 v11, s0, s4, v11, s0
	global_load_dwordx4 v[24:27], v[10:11], off
	s_waitcnt lgkmcnt(0)
	v_add_f64 v[10:11], v[0:1], -v[15:16]
	v_add_f64 v[28:29], v[2:3], v[17:18]
	v_add_f64 v[2:3], v[2:3], -v[17:18]
	v_add_f64 v[0:1], v[0:1], v[15:16]
	v_mul_f64 v[10:11], v[10:11], 0.5
	v_mul_f64 v[17:18], v[28:29], 0.5
	;; [unrolled: 1-line block ×3, first 2 shown]
	s_waitcnt vmcnt(2)
	v_mul_f64 v[15:16], v[10:11], v[6:7]
	v_fma_f64 v[28:29], v[17:18], v[6:7], v[2:3]
	v_fma_f64 v[2:3], v[17:18], v[6:7], -v[2:3]
	v_fma_f64 v[6:7], v[0:1], 0.5, v[15:16]
	v_fma_f64 v[0:1], v[0:1], 0.5, -v[15:16]
	v_fma_f64 v[28:29], -v[4:5], v[10:11], v[28:29]
	v_fma_f64 v[2:3], -v[4:5], v[10:11], v[2:3]
	v_mov_b32_e32 v15, v9
	v_lshlrev_b64 v[10:11], 4, v[14:15]
	v_mov_b32_e32 v14, v9
	v_add_co_u32 v10, s0, s1, v10
	v_add_co_ci_u32_e64 v11, s0, s4, v11, s0
	v_fma_f64 v[6:7], v[17:18], v[4:5], v[6:7]
	v_fma_f64 v[0:1], -v[17:18], v[4:5], v[0:1]
	v_add_nc_u32_e32 v4, 0x800, v106
	ds_write2_b64 v4, v[6:7], v[28:29] offset0:50 offset1:51
	ds_write_b128 v19, v[0:3] offset:26928
	ds_read_b128 v[0:3], v106 offset:4896
	ds_read_b128 v[4:7], v19 offset:24480
	global_load_dwordx4 v[15:18], v[10:11], off
	s_waitcnt lgkmcnt(0)
	v_add_f64 v[10:11], v[0:1], -v[4:5]
	v_add_f64 v[28:29], v[2:3], v[6:7]
	v_add_f64 v[2:3], v[2:3], -v[6:7]
	v_add_f64 v[0:1], v[0:1], v[4:5]
	v_mul_f64 v[6:7], v[10:11], 0.5
	v_mul_f64 v[10:11], v[28:29], 0.5
	;; [unrolled: 1-line block ×3, first 2 shown]
	s_waitcnt vmcnt(2)
	v_mul_f64 v[4:5], v[6:7], v[22:23]
	v_fma_f64 v[28:29], v[10:11], v[22:23], v[2:3]
	v_fma_f64 v[2:3], v[10:11], v[22:23], -v[2:3]
	v_fma_f64 v[22:23], v[0:1], 0.5, v[4:5]
	v_fma_f64 v[0:1], v[0:1], 0.5, -v[4:5]
	v_fma_f64 v[4:5], -v[20:21], v[6:7], v[28:29]
	v_fma_f64 v[2:3], -v[20:21], v[6:7], v[2:3]
	v_fma_f64 v[6:7], v[10:11], v[20:21], v[22:23]
	v_fma_f64 v[0:1], -v[10:11], v[20:21], v[0:1]
	v_lshlrev_b64 v[10:11], 4, v[13:14]
	ds_write2_b64 v8, v[6:7], v[4:5] offset0:100 offset1:101
	ds_write_b128 v19, v[0:3] offset:24480
	v_add_co_u32 v10, s0, s1, v10
	ds_read_b128 v[0:3], v106 offset:7344
	ds_read_b128 v[4:7], v19 offset:22032
	v_add_co_ci_u32_e64 v11, s0, s4, v11, s0
	v_add_nc_u32_e32 v8, 0x1800, v106
	global_load_dwordx4 v[10:13], v[10:11], off
	s_waitcnt lgkmcnt(0)
	v_add_f64 v[20:21], v[0:1], -v[4:5]
	v_add_f64 v[22:23], v[2:3], v[6:7]
	v_add_f64 v[2:3], v[2:3], -v[6:7]
	v_add_f64 v[0:1], v[0:1], v[4:5]
	v_mul_f64 v[6:7], v[20:21], 0.5
	v_mul_f64 v[20:21], v[22:23], 0.5
	v_mul_f64 v[2:3], v[2:3], 0.5
	s_waitcnt vmcnt(2)
	v_mul_f64 v[4:5], v[6:7], v[26:27]
	v_fma_f64 v[22:23], v[20:21], v[26:27], v[2:3]
	v_fma_f64 v[2:3], v[20:21], v[26:27], -v[2:3]
	v_fma_f64 v[26:27], v[0:1], 0.5, v[4:5]
	v_fma_f64 v[0:1], v[0:1], 0.5, -v[4:5]
	v_fma_f64 v[4:5], -v[24:25], v[6:7], v[22:23]
	v_fma_f64 v[2:3], -v[24:25], v[6:7], v[2:3]
	v_fma_f64 v[6:7], v[20:21], v[24:25], v[26:27]
	v_fma_f64 v[0:1], -v[20:21], v[24:25], v[0:1]
	ds_write2_b64 v8, v[6:7], v[4:5] offset0:150 offset1:151
	ds_write_b128 v19, v[0:3] offset:22032
	ds_read_b128 v[0:3], v106 offset:9792
	ds_read_b128 v[4:7], v19 offset:19584
	v_add_nc_u32_e32 v8, 0x2000, v106
	s_waitcnt lgkmcnt(0)
	v_add_f64 v[20:21], v[0:1], -v[4:5]
	v_add_f64 v[22:23], v[2:3], v[6:7]
	v_add_f64 v[2:3], v[2:3], -v[6:7]
	v_add_f64 v[0:1], v[0:1], v[4:5]
	v_mul_f64 v[6:7], v[20:21], 0.5
	v_mul_f64 v[20:21], v[22:23], 0.5
	;; [unrolled: 1-line block ×3, first 2 shown]
	s_waitcnt vmcnt(1)
	v_mul_f64 v[4:5], v[6:7], v[17:18]
	v_fma_f64 v[22:23], v[20:21], v[17:18], v[2:3]
	v_fma_f64 v[2:3], v[20:21], v[17:18], -v[2:3]
	v_fma_f64 v[17:18], v[0:1], 0.5, v[4:5]
	v_fma_f64 v[0:1], v[0:1], 0.5, -v[4:5]
	v_fma_f64 v[4:5], -v[15:16], v[6:7], v[22:23]
	v_fma_f64 v[2:3], -v[15:16], v[6:7], v[2:3]
	v_fma_f64 v[6:7], v[20:21], v[15:16], v[17:18]
	v_fma_f64 v[0:1], -v[20:21], v[15:16], v[0:1]
	ds_write2_b64 v8, v[6:7], v[4:5] offset0:200 offset1:201
	ds_write_b128 v19, v[0:3] offset:19584
	ds_read_b128 v[0:3], v106 offset:12240
	ds_read_b128 v[4:7], v19 offset:17136
	v_add_nc_u32_e32 v8, 0x2800, v106
	s_waitcnt lgkmcnt(0)
	v_add_f64 v[14:15], v[0:1], -v[4:5]
	v_add_f64 v[16:17], v[2:3], v[6:7]
	v_add_f64 v[2:3], v[2:3], -v[6:7]
	v_add_f64 v[0:1], v[0:1], v[4:5]
	v_mul_f64 v[6:7], v[14:15], 0.5
	v_mul_f64 v[14:15], v[16:17], 0.5
	;; [unrolled: 1-line block ×3, first 2 shown]
	s_waitcnt vmcnt(0)
	v_mul_f64 v[4:5], v[6:7], v[12:13]
	v_fma_f64 v[16:17], v[14:15], v[12:13], v[2:3]
	v_fma_f64 v[2:3], v[14:15], v[12:13], -v[2:3]
	v_fma_f64 v[12:13], v[0:1], 0.5, v[4:5]
	v_fma_f64 v[0:1], v[0:1], 0.5, -v[4:5]
	v_fma_f64 v[4:5], -v[10:11], v[6:7], v[16:17]
	v_fma_f64 v[2:3], -v[10:11], v[6:7], v[2:3]
	v_fma_f64 v[6:7], v[14:15], v[10:11], v[12:13]
	v_fma_f64 v[0:1], -v[14:15], v[10:11], v[0:1]
	ds_write2_b64 v8, v[6:7], v[4:5] offset0:250 offset1:251
	ds_write_b128 v19, v[0:3] offset:17136
	s_waitcnt lgkmcnt(0)
	s_barrier
	buffer_gl0_inv
	s_and_saveexec_b32 s0, vcc_lo
	s_cbranch_execz .LBB0_22
; %bb.20:
	v_mul_lo_u32 v2, s3, v72
	v_mul_lo_u32 v3, s2, v73
	v_mad_u64_u32 v[0:1], null, s2, v72, 0
	v_mov_b32_e32 v71, v9
	v_lshlrev_b64 v[6:7], 4, v[68:69]
	v_lshl_add_u32 v30, v70, 4, 0
	v_add_nc_u32_e32 v8, 0x99, v70
	v_lshlrev_b64 v[14:15], 4, v[70:71]
	v_add3_u32 v1, v1, v3, v2
	ds_read_b128 v[2:5], v30
	ds_read_b128 v[10:13], v30 offset:2448
	v_lshlrev_b64 v[22:23], 4, v[8:9]
	v_add_nc_u32_e32 v8, 0x132, v70
	v_lshlrev_b64 v[0:1], 4, v[0:1]
	v_lshlrev_b64 v[24:25], 4, v[8:9]
	v_add_nc_u32_e32 v8, 0x1cb, v70
	v_add_co_u32 v0, vcc_lo, s10, v0
	v_add_co_ci_u32_e32 v1, vcc_lo, s11, v1, vcc_lo
	v_lshlrev_b64 v[26:27], 4, v[8:9]
	v_add_co_u32 v0, vcc_lo, v0, v6
	v_add_co_ci_u32_e32 v1, vcc_lo, v1, v7, vcc_lo
	v_add_nc_u32_e32 v8, 0x264, v70
	v_add_co_u32 v6, vcc_lo, v0, v14
	v_add_co_ci_u32_e32 v7, vcc_lo, v1, v15, vcc_lo
	ds_read_b128 v[14:17], v30 offset:4896
	ds_read_b128 v[18:21], v30 offset:7344
	v_add_co_u32 v22, vcc_lo, v0, v22
	v_add_co_ci_u32_e32 v23, vcc_lo, v1, v23, vcc_lo
	v_add_co_u32 v24, vcc_lo, v0, v24
	v_add_co_ci_u32_e32 v25, vcc_lo, v1, v25, vcc_lo
	;; [unrolled: 2-line block ×3, first 2 shown]
	v_lshlrev_b64 v[28:29], 4, v[8:9]
	v_add_nc_u32_e32 v8, 0x2fd, v70
	s_waitcnt lgkmcnt(3)
	global_store_dwordx4 v[6:7], v[2:5], off
	s_waitcnt lgkmcnt(2)
	global_store_dwordx4 v[22:23], v[10:13], off
	;; [unrolled: 2-line block ×4, first 2 shown]
	ds_read_b128 v[2:5], v30 offset:9792
	ds_read_b128 v[10:13], v30 offset:12240
	v_lshlrev_b64 v[6:7], 4, v[8:9]
	v_add_nc_u32_e32 v8, 0x396, v70
	ds_read_b128 v[14:17], v30 offset:14688
	ds_read_b128 v[18:21], v30 offset:17136
	v_add_co_u32 v22, vcc_lo, v0, v28
	v_add_co_ci_u32_e32 v23, vcc_lo, v1, v29, vcc_lo
	v_lshlrev_b64 v[24:25], 4, v[8:9]
	v_add_nc_u32_e32 v8, 0x42f, v70
	v_add_co_u32 v6, vcc_lo, v0, v6
	v_add_co_ci_u32_e32 v7, vcc_lo, v1, v7, vcc_lo
	v_lshlrev_b64 v[26:27], 4, v[8:9]
	v_add_nc_u32_e32 v8, 0x4c8, v70
	v_add_co_u32 v24, vcc_lo, v0, v24
	v_add_co_ci_u32_e32 v25, vcc_lo, v1, v25, vcc_lo
	s_waitcnt lgkmcnt(3)
	global_store_dwordx4 v[22:23], v[2:5], off
	v_lshlrev_b64 v[2:3], 4, v[8:9]
	v_add_nc_u32_e32 v8, 0x561, v70
	v_add_co_u32 v26, vcc_lo, v0, v26
	v_add_co_ci_u32_e32 v27, vcc_lo, v1, v27, vcc_lo
	v_lshlrev_b64 v[22:23], 4, v[8:9]
	v_add_nc_u32_e32 v8, 0x5fa, v70
	s_waitcnt lgkmcnt(2)
	global_store_dwordx4 v[6:7], v[10:13], off
	s_waitcnt lgkmcnt(1)
	global_store_dwordx4 v[24:25], v[14:17], off
	;; [unrolled: 2-line block ×3, first 2 shown]
	v_add_co_u32 v6, vcc_lo, v0, v2
	v_add_co_ci_u32_e32 v7, vcc_lo, v1, v3, vcc_lo
	ds_read_b128 v[2:5], v30 offset:19584
	ds_read_b128 v[10:13], v30 offset:22032
	;; [unrolled: 1-line block ×4, first 2 shown]
	v_lshlrev_b64 v[24:25], 4, v[8:9]
	v_add_nc_u32_e32 v8, 0x693, v70
	v_add_co_u32 v22, vcc_lo, v0, v22
	v_add_co_ci_u32_e32 v23, vcc_lo, v1, v23, vcc_lo
	v_lshlrev_b64 v[8:9], 4, v[8:9]
	v_add_co_u32 v24, vcc_lo, v0, v24
	v_add_co_ci_u32_e32 v25, vcc_lo, v1, v25, vcc_lo
	v_add_co_u32 v8, vcc_lo, v0, v8
	v_add_co_ci_u32_e32 v9, vcc_lo, v1, v9, vcc_lo
	v_cmp_eq_u32_e32 vcc_lo, 0x98, v70
	s_waitcnt lgkmcnt(3)
	global_store_dwordx4 v[6:7], v[2:5], off
	s_waitcnt lgkmcnt(2)
	global_store_dwordx4 v[22:23], v[10:13], off
	;; [unrolled: 2-line block ×4, first 2 shown]
	s_and_b32 exec_lo, exec_lo, vcc_lo
	s_cbranch_execz .LBB0_22
; %bb.21:
	v_mov_b32_e32 v2, 0
	v_add_co_u32 v0, vcc_lo, 0x7000, v0
	v_add_co_ci_u32_e32 v1, vcc_lo, 0, v1, vcc_lo
	ds_read_b128 v[2:5], v2 offset:29376
	s_waitcnt lgkmcnt(0)
	global_store_dwordx4 v[0:1], v[2:5], off offset:704
.LBB0_22:
	s_endpgm
	.section	.rodata,"a",@progbits
	.p2align	6, 0x0
	.amdhsa_kernel fft_rtc_back_len1836_factors_17_3_3_2_6_wgs_153_tpt_153_halfLds_dp_op_CI_CI_unitstride_sbrr_R2C_dirReg
		.amdhsa_group_segment_fixed_size 0
		.amdhsa_private_segment_fixed_size 0
		.amdhsa_kernarg_size 104
		.amdhsa_user_sgpr_count 6
		.amdhsa_user_sgpr_private_segment_buffer 1
		.amdhsa_user_sgpr_dispatch_ptr 0
		.amdhsa_user_sgpr_queue_ptr 0
		.amdhsa_user_sgpr_kernarg_segment_ptr 1
		.amdhsa_user_sgpr_dispatch_id 0
		.amdhsa_user_sgpr_flat_scratch_init 0
		.amdhsa_user_sgpr_private_segment_size 0
		.amdhsa_wavefront_size32 1
		.amdhsa_uses_dynamic_stack 0
		.amdhsa_system_sgpr_private_segment_wavefront_offset 0
		.amdhsa_system_sgpr_workgroup_id_x 1
		.amdhsa_system_sgpr_workgroup_id_y 0
		.amdhsa_system_sgpr_workgroup_id_z 0
		.amdhsa_system_sgpr_workgroup_info 0
		.amdhsa_system_vgpr_workitem_id 0
		.amdhsa_next_free_vgpr 165
		.amdhsa_next_free_sgpr 54
		.amdhsa_reserve_vcc 1
		.amdhsa_reserve_flat_scratch 0
		.amdhsa_float_round_mode_32 0
		.amdhsa_float_round_mode_16_64 0
		.amdhsa_float_denorm_mode_32 3
		.amdhsa_float_denorm_mode_16_64 3
		.amdhsa_dx10_clamp 1
		.amdhsa_ieee_mode 1
		.amdhsa_fp16_overflow 0
		.amdhsa_workgroup_processor_mode 1
		.amdhsa_memory_ordered 1
		.amdhsa_forward_progress 0
		.amdhsa_shared_vgpr_count 0
		.amdhsa_exception_fp_ieee_invalid_op 0
		.amdhsa_exception_fp_denorm_src 0
		.amdhsa_exception_fp_ieee_div_zero 0
		.amdhsa_exception_fp_ieee_overflow 0
		.amdhsa_exception_fp_ieee_underflow 0
		.amdhsa_exception_fp_ieee_inexact 0
		.amdhsa_exception_int_div_zero 0
	.end_amdhsa_kernel
	.text
.Lfunc_end0:
	.size	fft_rtc_back_len1836_factors_17_3_3_2_6_wgs_153_tpt_153_halfLds_dp_op_CI_CI_unitstride_sbrr_R2C_dirReg, .Lfunc_end0-fft_rtc_back_len1836_factors_17_3_3_2_6_wgs_153_tpt_153_halfLds_dp_op_CI_CI_unitstride_sbrr_R2C_dirReg
                                        ; -- End function
	.section	.AMDGPU.csdata,"",@progbits
; Kernel info:
; codeLenInByte = 15520
; NumSgprs: 56
; NumVgprs: 165
; ScratchSize: 0
; MemoryBound: 0
; FloatMode: 240
; IeeeMode: 1
; LDSByteSize: 0 bytes/workgroup (compile time only)
; SGPRBlocks: 6
; VGPRBlocks: 20
; NumSGPRsForWavesPerEU: 56
; NumVGPRsForWavesPerEU: 165
; Occupancy: 5
; WaveLimiterHint : 1
; COMPUTE_PGM_RSRC2:SCRATCH_EN: 0
; COMPUTE_PGM_RSRC2:USER_SGPR: 6
; COMPUTE_PGM_RSRC2:TRAP_HANDLER: 0
; COMPUTE_PGM_RSRC2:TGID_X_EN: 1
; COMPUTE_PGM_RSRC2:TGID_Y_EN: 0
; COMPUTE_PGM_RSRC2:TGID_Z_EN: 0
; COMPUTE_PGM_RSRC2:TIDIG_COMP_CNT: 0
	.text
	.p2alignl 6, 3214868480
	.fill 48, 4, 3214868480
	.type	__hip_cuid_57f6c4ca896c1490,@object ; @__hip_cuid_57f6c4ca896c1490
	.section	.bss,"aw",@nobits
	.globl	__hip_cuid_57f6c4ca896c1490
__hip_cuid_57f6c4ca896c1490:
	.byte	0                               ; 0x0
	.size	__hip_cuid_57f6c4ca896c1490, 1

	.ident	"AMD clang version 19.0.0git (https://github.com/RadeonOpenCompute/llvm-project roc-6.4.0 25133 c7fe45cf4b819c5991fe208aaa96edf142730f1d)"
	.section	".note.GNU-stack","",@progbits
	.addrsig
	.addrsig_sym __hip_cuid_57f6c4ca896c1490
	.amdgpu_metadata
---
amdhsa.kernels:
  - .args:
      - .actual_access:  read_only
        .address_space:  global
        .offset:         0
        .size:           8
        .value_kind:     global_buffer
      - .offset:         8
        .size:           8
        .value_kind:     by_value
      - .actual_access:  read_only
        .address_space:  global
        .offset:         16
        .size:           8
        .value_kind:     global_buffer
      - .actual_access:  read_only
        .address_space:  global
        .offset:         24
        .size:           8
        .value_kind:     global_buffer
      - .actual_access:  read_only
        .address_space:  global
        .offset:         32
        .size:           8
        .value_kind:     global_buffer
      - .offset:         40
        .size:           8
        .value_kind:     by_value
      - .actual_access:  read_only
        .address_space:  global
        .offset:         48
        .size:           8
        .value_kind:     global_buffer
      - .actual_access:  read_only
        .address_space:  global
        .offset:         56
        .size:           8
        .value_kind:     global_buffer
      - .offset:         64
        .size:           4
        .value_kind:     by_value
      - .actual_access:  read_only
        .address_space:  global
        .offset:         72
        .size:           8
        .value_kind:     global_buffer
      - .actual_access:  read_only
        .address_space:  global
        .offset:         80
        .size:           8
        .value_kind:     global_buffer
      - .actual_access:  read_only
        .address_space:  global
        .offset:         88
        .size:           8
        .value_kind:     global_buffer
      - .actual_access:  write_only
        .address_space:  global
        .offset:         96
        .size:           8
        .value_kind:     global_buffer
    .group_segment_fixed_size: 0
    .kernarg_segment_align: 8
    .kernarg_segment_size: 104
    .language:       OpenCL C
    .language_version:
      - 2
      - 0
    .max_flat_workgroup_size: 153
    .name:           fft_rtc_back_len1836_factors_17_3_3_2_6_wgs_153_tpt_153_halfLds_dp_op_CI_CI_unitstride_sbrr_R2C_dirReg
    .private_segment_fixed_size: 0
    .sgpr_count:     56
    .sgpr_spill_count: 0
    .symbol:         fft_rtc_back_len1836_factors_17_3_3_2_6_wgs_153_tpt_153_halfLds_dp_op_CI_CI_unitstride_sbrr_R2C_dirReg.kd
    .uniform_work_group_size: 1
    .uses_dynamic_stack: false
    .vgpr_count:     165
    .vgpr_spill_count: 0
    .wavefront_size: 32
    .workgroup_processor_mode: 1
amdhsa.target:   amdgcn-amd-amdhsa--gfx1030
amdhsa.version:
  - 1
  - 2
...

	.end_amdgpu_metadata
